;; amdgpu-corpus repo=ROCm/rocFFT kind=compiled arch=gfx1030 opt=O3
	.text
	.amdgcn_target "amdgcn-amd-amdhsa--gfx1030"
	.amdhsa_code_object_version 6
	.protected	bluestein_single_back_len2040_dim1_half_op_CI_CI ; -- Begin function bluestein_single_back_len2040_dim1_half_op_CI_CI
	.globl	bluestein_single_back_len2040_dim1_half_op_CI_CI
	.p2align	8
	.type	bluestein_single_back_len2040_dim1_half_op_CI_CI,@function
bluestein_single_back_len2040_dim1_half_op_CI_CI: ; @bluestein_single_back_len2040_dim1_half_op_CI_CI
; %bb.0:
	s_load_dwordx4 s[0:3], s[4:5], 0x28
	v_mul_u32_u24_e32 v1, 0x182, v0
	v_mov_b32_e32 v26, 0
	v_lshrrev_b32_e32 v1, 16, v1
	v_add_nc_u32_e32 v25, s6, v1
	s_waitcnt lgkmcnt(0)
	v_cmp_gt_u64_e32 vcc_lo, s[0:1], v[25:26]
	s_and_saveexec_b32 s0, vcc_lo
	s_cbranch_execz .LBB0_23
; %bb.1:
	v_mul_lo_u16 v1, 0xaa, v1
	s_clause 0x1
	s_load_dwordx2 s[12:13], s[4:5], 0x0
	s_load_dwordx2 s[14:15], s[4:5], 0x38
	v_sub_nc_u16 v0, v0, v1
	v_and_b32_e32 v60, 0xffff, v0
	v_cmp_gt_u16_e32 vcc_lo, 0x78, v0
	v_lshlrev_b32_e32 v59, 2, v60
	v_or_b32_e32 v58, 0x780, v60
	s_and_saveexec_b32 s1, vcc_lo
	s_cbranch_execz .LBB0_3
; %bb.2:
	s_load_dwordx2 s[6:7], s[4:5], 0x18
	s_waitcnt lgkmcnt(0)
	v_add_co_u32 v12, s0, s12, v59
	v_add_co_ci_u32_e64 v13, null, s13, 0, s0
	v_lshlrev_b32_e32 v18, 2, v58
	v_add_nc_u32_e32 v37, 0xa00, v59
	v_add_nc_u32_e32 v38, 0xe00, v59
	;; [unrolled: 1-line block ×5, first 2 shown]
	s_load_dwordx4 s[8:11], s[6:7], 0x0
	s_clause 0x3
	global_load_dword v14, v59, s[12:13] offset:480
	global_load_dword v15, v59, s[12:13] offset:960
	;; [unrolled: 1-line block ×4, first 2 shown]
	s_waitcnt lgkmcnt(0)
	v_mad_u64_u32 v[0:1], null, s10, v25, 0
	v_mad_u64_u32 v[2:3], null, s8, v60, 0
	;; [unrolled: 1-line block ×3, first 2 shown]
	s_mul_hi_u32 s6, s8, 0x1e0
	s_mul_i32 s7, s8, 0x1e0
	v_mad_u64_u32 v[6:7], null, s11, v25, v[1:2]
	v_mad_u64_u32 v[9:10], null, s9, v60, v[3:4]
	v_add_co_u32 v7, s0, 0x800, v12
	v_add_co_ci_u32_e64 v8, s0, 0, v13, s0
	v_mad_u64_u32 v[10:11], null, s9, v58, v[5:6]
	v_mov_b32_e32 v1, v6
	v_mov_b32_e32 v3, v9
	s_mul_i32 s0, s9, 0x1e0
	s_clause 0x1
	global_load_dword v6, v59, s[12:13]
	global_load_dword v11, v18, s[12:13]
	s_add_i32 s6, s6, s0
	v_lshlrev_b64 v[0:1], 2, v[0:1]
	v_mov_b32_e32 v5, v10
	v_lshlrev_b64 v[2:3], 2, v[2:3]
	v_add_co_u32 v9, s0, s2, v0
	v_add_co_ci_u32_e64 v10, s0, s3, v1, s0
	v_lshlrev_b64 v[0:1], 2, v[4:5]
	v_add_co_u32 v2, s0, v9, v2
	v_add_co_ci_u32_e64 v3, s0, v10, v3, s0
	v_add_co_u32 v0, s0, v9, v0
	v_add_co_ci_u32_e64 v1, s0, v10, v1, s0
	s_clause 0x1
	global_load_dword v18, v[2:3], off
	global_load_dword v19, v[0:1], off
	v_add_co_u32 v2, s0, v2, s7
	v_add_co_ci_u32_e64 v3, s0, s6, v3, s0
	v_add_co_u32 v0, s0, v2, s7
	v_add_co_ci_u32_e64 v1, s0, s6, v3, s0
	global_load_dword v20, v[2:3], off
	v_add_co_u32 v2, s0, v0, s7
	v_add_co_ci_u32_e64 v3, s0, s6, v1, s0
	v_add_co_u32 v4, s0, 0x1000, v12
	v_add_co_ci_u32_e64 v5, s0, 0, v13, s0
	s_clause 0x1
	global_load_dword v21, v[0:1], off
	global_load_dword v22, v[2:3], off
	v_add_co_u32 v0, s0, v2, s7
	v_add_co_ci_u32_e64 v1, s0, s6, v3, s0
	s_clause 0x2
	global_load_dword v23, v[7:8], off offset:352
	global_load_dword v24, v[7:8], off offset:832
	;; [unrolled: 1-line block ×3, first 2 shown]
	v_add_co_u32 v2, s0, v0, s7
	v_add_co_ci_u32_e64 v3, s0, s6, v1, s0
	global_load_dword v27, v[0:1], off
	v_add_co_u32 v0, s0, v2, s7
	v_add_co_ci_u32_e64 v1, s0, s6, v3, s0
	global_load_dword v28, v[2:3], off
	;; [unrolled: 3-line block ×4, first 2 shown]
	v_add_co_u32 v2, s0, v0, s7
	v_add_co_ci_u32_e64 v3, s0, s6, v1, s0
	v_add_co_u32 v9, s0, 0x1800, v12
	v_add_co_ci_u32_e64 v10, s0, 0, v13, s0
	global_load_dword v7, v[7:8], off offset:1792
	global_load_dword v8, v[0:1], off
	global_load_dword v12, v[2:3], off
	v_add_co_u32 v0, s0, v2, s7
	v_add_co_ci_u32_e64 v1, s0, s6, v3, s0
	s_clause 0x3
	global_load_dword v13, v[4:5], off offset:224
	global_load_dword v31, v[4:5], off offset:704
	;; [unrolled: 1-line block ×4, first 2 shown]
	v_add_co_u32 v2, s0, v0, s7
	v_add_co_ci_u32_e64 v3, s0, s6, v1, s0
	global_load_dword v5, v[0:1], off
	v_add_co_u32 v0, s0, v2, s7
	v_add_co_ci_u32_e64 v1, s0, s6, v3, s0
	global_load_dword v33, v[2:3], off
	;; [unrolled: 3-line block ×4, first 2 shown]
	v_add_co_u32 v2, s0, v0, s7
	v_add_co_ci_u32_e64 v3, s0, s6, v1, s0
	global_load_dword v36, v[9:10], off offset:96
	global_load_dword v0, v[0:1], off
	global_load_dword v1, v[2:3], off
	s_clause 0x1
	global_load_dword v2, v[9:10], off offset:576
	global_load_dword v3, v[9:10], off offset:1056
	v_add_nc_u32_e32 v9, 0x200, v59
	v_add_nc_u32_e32 v10, 0x600, v59
	s_waitcnt vmcnt(27)
	v_lshrrev_b32_e32 v42, 16, v18
	v_mul_f16_sdwa v43, v6, v18 dst_sel:DWORD dst_unused:UNUSED_PAD src0_sel:WORD_1 src1_sel:DWORD
	s_waitcnt vmcnt(26)
	v_lshrrev_b32_e32 v44, 16, v19
	v_mul_f16_sdwa v45, v11, v19 dst_sel:DWORD dst_unused:UNUSED_PAD src0_sel:WORD_1 src1_sel:DWORD
	v_mul_f16_sdwa v46, v6, v42 dst_sel:DWORD dst_unused:UNUSED_PAD src0_sel:WORD_1 src1_sel:DWORD
	v_fma_f16 v42, v6, v42, -v43
	v_mul_f16_sdwa v48, v11, v44 dst_sel:DWORD dst_unused:UNUSED_PAD src0_sel:WORD_1 src1_sel:DWORD
	v_fma_f16 v44, v11, v44, -v45
	v_fmac_f16_e32 v46, v6, v18
	s_waitcnt vmcnt(25)
	v_lshrrev_b32_e32 v43, 16, v20
	v_mul_f16_sdwa v47, v14, v20 dst_sel:DWORD dst_unused:UNUSED_PAD src0_sel:WORD_1 src1_sel:DWORD
	v_fmac_f16_e32 v48, v11, v19
	v_pack_b32_f16 v11, v46, v42
	v_mul_f16_sdwa v6, v14, v43 dst_sel:DWORD dst_unused:UNUSED_PAD src0_sel:WORD_1 src1_sel:DWORD
	v_fma_f16 v18, v14, v43, -v47
	s_waitcnt vmcnt(24)
	v_lshrrev_b32_e32 v43, 16, v21
	v_mul_f16_sdwa v45, v15, v21 dst_sel:DWORD dst_unused:UNUSED_PAD src0_sel:WORD_1 src1_sel:DWORD
	v_fmac_f16_e32 v6, v14, v20
	s_waitcnt vmcnt(23)
	v_lshrrev_b32_e32 v20, 16, v22
	v_mul_f16_sdwa v42, v16, v22 dst_sel:DWORD dst_unused:UNUSED_PAD src0_sel:WORD_1 src1_sel:DWORD
	v_mul_f16_sdwa v14, v15, v43 dst_sel:DWORD dst_unused:UNUSED_PAD src0_sel:WORD_1 src1_sel:DWORD
	v_fma_f16 v19, v15, v43, -v45
	v_pack_b32_f16 v6, v6, v18
	v_pack_b32_f16 v43, v48, v44
	v_fma_f16 v18, v16, v20, -v42
	v_fmac_f16_e32 v14, v15, v21
	v_mul_f16_sdwa v15, v16, v20 dst_sel:DWORD dst_unused:UNUSED_PAD src0_sel:WORD_1 src1_sel:DWORD
	s_waitcnt vmcnt(19)
	v_lshrrev_b32_e32 v20, 16, v27
	v_mul_f16_sdwa v21, v17, v27 dst_sel:DWORD dst_unused:UNUSED_PAD src0_sel:WORD_1 src1_sel:DWORD
	ds_write2_b32 v59, v11, v6 offset1:120
	v_pack_b32_f16 v6, v14, v19
	v_fmac_f16_e32 v15, v16, v22
	v_mul_f16_sdwa v11, v17, v20 dst_sel:DWORD dst_unused:UNUSED_PAD src0_sel:WORD_1 src1_sel:DWORD
	s_waitcnt vmcnt(18)
	v_lshrrev_b32_e32 v14, 16, v28
	v_mul_f16_sdwa v16, v23, v28 dst_sel:DWORD dst_unused:UNUSED_PAD src0_sel:WORD_1 src1_sel:DWORD
	v_fma_f16 v19, v17, v20, -v21
	v_pack_b32_f16 v15, v15, v18
	v_fmac_f16_e32 v11, v17, v27
	v_mul_f16_sdwa v17, v23, v14 dst_sel:DWORD dst_unused:UNUSED_PAD src0_sel:WORD_1 src1_sel:DWORD
	v_fma_f16 v14, v23, v14, -v16
	s_waitcnt vmcnt(17)
	v_lshrrev_b32_e32 v16, 16, v29
	v_mul_f16_sdwa v18, v24, v29 dst_sel:DWORD dst_unused:UNUSED_PAD src0_sel:WORD_1 src1_sel:DWORD
	ds_write2_b32 v9, v6, v15 offset0:112 offset1:232
	v_pack_b32_f16 v6, v11, v19
	v_fmac_f16_e32 v17, v23, v28
	v_mul_f16_sdwa v9, v24, v16 dst_sel:DWORD dst_unused:UNUSED_PAD src0_sel:WORD_1 src1_sel:DWORD
	s_waitcnt vmcnt(16)
	v_lshrrev_b32_e32 v11, 16, v30
	v_mul_f16_sdwa v15, v26, v30 dst_sel:DWORD dst_unused:UNUSED_PAD src0_sel:WORD_1 src1_sel:DWORD
	v_fma_f16 v16, v24, v16, -v18
	v_pack_b32_f16 v14, v17, v14
	v_fmac_f16_e32 v9, v24, v29
	v_mul_f16_sdwa v17, v26, v11 dst_sel:DWORD dst_unused:UNUSED_PAD src0_sel:WORD_1 src1_sel:DWORD
	v_fma_f16 v11, v26, v11, -v15
	s_waitcnt vmcnt(14)
	v_lshrrev_b32_e32 v15, 16, v8
	v_mul_f16_sdwa v18, v7, v8 dst_sel:DWORD dst_unused:UNUSED_PAD src0_sel:WORD_1 src1_sel:DWORD
	ds_write2_b32 v10, v6, v14 offset0:96 offset1:216
	v_pack_b32_f16 v6, v9, v16
	s_waitcnt vmcnt(13)
	v_lshrrev_b32_e32 v10, 16, v12
	v_mul_f16_sdwa v9, v7, v15 dst_sel:DWORD dst_unused:UNUSED_PAD src0_sel:WORD_1 src1_sel:DWORD
	v_fma_f16 v14, v7, v15, -v18
	s_waitcnt vmcnt(12)
	v_mul_f16_sdwa v15, v13, v12 dst_sel:DWORD dst_unused:UNUSED_PAD src0_sel:WORD_1 src1_sel:DWORD
	s_waitcnt vmcnt(8)
	v_mul_f16_sdwa v16, v31, v5 dst_sel:DWORD dst_unused:UNUSED_PAD src0_sel:WORD_1 src1_sel:DWORD
	v_fmac_f16_e32 v17, v26, v30
	v_fmac_f16_e32 v9, v7, v8
	v_mul_f16_sdwa v7, v13, v10 dst_sel:DWORD dst_unused:UNUSED_PAD src0_sel:WORD_1 src1_sel:DWORD
	v_lshrrev_b32_e32 v8, 16, v5
	v_fma_f16 v10, v13, v10, -v15
	v_pack_b32_f16 v11, v17, v11
	v_pack_b32_f16 v9, v9, v14
	v_fmac_f16_e32 v7, v13, v12
	v_mul_f16_sdwa v12, v31, v8 dst_sel:DWORD dst_unused:UNUSED_PAD src0_sel:WORD_1 src1_sel:DWORD
	v_fma_f16 v8, v31, v8, -v16
	s_waitcnt vmcnt(7)
	v_lshrrev_b32_e32 v13, 16, v33
	v_mul_f16_sdwa v14, v32, v33 dst_sel:DWORD dst_unused:UNUSED_PAD src0_sel:WORD_1 src1_sel:DWORD
	v_pack_b32_f16 v7, v7, v10
	v_fmac_f16_e32 v12, v31, v5
	s_waitcnt vmcnt(6)
	v_lshrrev_b32_e32 v5, 16, v34
	v_mul_f16_sdwa v10, v32, v13 dst_sel:DWORD dst_unused:UNUSED_PAD src0_sel:WORD_1 src1_sel:DWORD
	v_fma_f16 v13, v32, v13, -v14
	v_mul_f16_sdwa v14, v4, v34 dst_sel:DWORD dst_unused:UNUSED_PAD src0_sel:WORD_1 src1_sel:DWORD
	v_pack_b32_f16 v8, v12, v8
	v_mul_f16_sdwa v12, v4, v5 dst_sel:DWORD dst_unused:UNUSED_PAD src0_sel:WORD_1 src1_sel:DWORD
	s_waitcnt vmcnt(5)
	v_lshrrev_b32_e32 v15, 16, v35
	s_waitcnt vmcnt(2)
	v_lshrrev_b32_e32 v17, 16, v1
	v_fma_f16 v5, v4, v5, -v14
	v_mul_f16_sdwa v14, v36, v35 dst_sel:DWORD dst_unused:UNUSED_PAD src0_sel:WORD_1 src1_sel:DWORD
	v_fmac_f16_e32 v12, v4, v34
	v_lshrrev_b32_e32 v4, 16, v0
	v_mul_f16_sdwa v16, v36, v15 dst_sel:DWORD dst_unused:UNUSED_PAD src0_sel:WORD_1 src1_sel:DWORD
	s_waitcnt vmcnt(0)
	v_mul_f16_sdwa v19, v3, v1 dst_sel:DWORD dst_unused:UNUSED_PAD src0_sel:WORD_1 src1_sel:DWORD
	v_fma_f16 v14, v36, v15, -v14
	v_mul_f16_sdwa v15, v2, v0 dst_sel:DWORD dst_unused:UNUSED_PAD src0_sel:WORD_1 src1_sel:DWORD
	v_mul_f16_sdwa v18, v2, v4 dst_sel:DWORD dst_unused:UNUSED_PAD src0_sel:WORD_1 src1_sel:DWORD
	;; [unrolled: 1-line block ×3, first 2 shown]
	v_fmac_f16_e32 v10, v32, v33
	v_fmac_f16_e32 v16, v36, v35
	v_fma_f16 v4, v2, v4, -v15
	v_fmac_f16_e32 v18, v2, v0
	v_fma_f16 v0, v3, v17, -v19
	v_fmac_f16_e32 v20, v3, v1
	v_pack_b32_f16 v1, v10, v13
	v_pack_b32_f16 v2, v12, v5
	;; [unrolled: 1-line block ×5, first 2 shown]
	ds_write2_b32 v37, v6, v11 offset0:80 offset1:200
	ds_write2_b32 v38, v9, v7 offset0:64 offset1:184
	;; [unrolled: 1-line block ×5, first 2 shown]
	ds_write_b32 v59, v43 offset:7680
.LBB0_3:
	s_or_b32 exec_lo, exec_lo, s1
	s_clause 0x1
	s_load_dwordx2 s[0:1], s[4:5], 0x20
	s_load_dwordx2 s[2:3], s[4:5], 0x8
	v_mov_b32_e32 v4, 0
	s_waitcnt lgkmcnt(0)
	s_barrier
	buffer_gl0_inv
                                        ; implicit-def: $vgpr16
                                        ; implicit-def: $vgpr1
                                        ; implicit-def: $vgpr3
                                        ; implicit-def: $vgpr7
                                        ; implicit-def: $vgpr9
                                        ; implicit-def: $vgpr13
                                        ; implicit-def: $vgpr11
                                        ; implicit-def: $vgpr15
                                        ; implicit-def: $vgpr40
                                        ; kill: def $vgpr0 killed $sgpr0 killed $exec
	s_and_saveexec_b32 s4, vcc_lo
	s_cbranch_execz .LBB0_5
; %bb.4:
	v_add_nc_u32_e32 v0, 0x200, v59
	v_add_nc_u32_e32 v1, 0x600, v59
	;; [unrolled: 1-line block ×3, first 2 shown]
	ds_read2_b32 v[4:5], v59 offset1:120
	v_add_nc_u32_e32 v3, 0x1600, v59
	ds_read2_b32 v[14:15], v0 offset0:112 offset1:232
	ds_read2_b32 v[10:11], v1 offset0:96 offset1:216
	v_add_nc_u32_e32 v0, 0xe00, v59
	v_add_nc_u32_e32 v1, 0x1200, v59
	;; [unrolled: 1-line block ×3, first 2 shown]
	ds_read2_b32 v[12:13], v2 offset0:80 offset1:200
	ds_read2_b32 v[8:9], v0 offset0:64 offset1:184
	;; [unrolled: 1-line block ×5, first 2 shown]
	ds_read_b32 v16, v59 offset:7680
	s_waitcnt lgkmcnt(7)
	v_alignbit_b32 v40, v14, v14, 16
.LBB0_5:
	s_or_b32 exec_lo, exec_lo, s4
	s_waitcnt lgkmcnt(0)
	v_pk_add_f16 v14, v5, v16 neg_lo:[0,1] neg_hi:[0,1]
	v_mov_b32_e32 v79, 0xbbf7
	v_mov_b32_e32 v53, 0xbbb2
	v_pk_add_f16 v18, v16, v5
	v_pk_add_f16 v17, v1, v40 op_sel:[1,0] op_sel_hi:[0,1]
	v_pk_add_f16 v19, v40, v1 op_sel:[1,0] op_sel_hi:[0,1] neg_lo:[0,1] neg_hi:[0,1]
	v_mul_f16_sdwa v33, v14, v79 dst_sel:DWORD dst_unused:UNUSED_PAD src0_sel:WORD_1 src1_sel:DWORD
	v_mul_f16_sdwa v43, v14, v53 dst_sel:DWORD dst_unused:UNUSED_PAD src0_sel:WORD_1 src1_sel:DWORD
	v_mov_b32_e32 v80, 0xb1e1
	v_lshrrev_b32_e32 v46, 16, v17
	v_mov_b32_e32 v22, 0x3836
	v_fmamk_f16 v20, v18, 0x2de8, v33
	v_fmamk_f16 v21, v18, 0xb461, v43
	v_mul_f16_sdwa v39, v19, v80 dst_sel:DWORD dst_unused:UNUSED_PAD src0_sel:WORD_1 src1_sel:DWORD
	v_mov_b32_e32 v130, 0x3bb2
	v_mul_f16_sdwa v45, v19, v22 dst_sel:DWORD dst_unused:UNUSED_PAD src0_sel:WORD_1 src1_sel:DWORD
	v_add_f16_e32 v23, v20, v4
	v_add_f16_e32 v24, v21, v4
	v_fmamk_f16 v21, v46, 0xbbdd, v39
	v_pk_add_f16 v20, v15, v0 neg_lo:[0,1] neg_hi:[0,1]
	v_mov_b32_e32 v89, 0x3964
	v_pk_add_f16 v22, v0, v15
	v_mov_b32_e32 v36, 0xbb29
	v_add_f16_e32 v26, v21, v23
	v_fmamk_f16 v23, v46, 0xbacd, v45
	v_mul_f16_sdwa v41, v20, v130 dst_sel:DWORD dst_unused:UNUSED_PAD src0_sel:WORD_1 src1_sel:DWORD
	v_mul_f16_sdwa v50, v20, v89 dst_sel:DWORD dst_unused:UNUSED_PAD src0_sel:WORD_1 src1_sel:DWORD
	v_pk_add_f16 v21, v10, v3 neg_lo:[0,1] neg_hi:[0,1]
	v_mov_b32_e32 v27, 0x35c8
	v_add_f16_e32 v28, v23, v24
	v_fmamk_f16 v24, v22, 0xb461, v41
	v_fmamk_f16 v29, v22, 0x39e9, v50
	v_pk_add_f16 v23, v3, v10
	v_mul_f16_sdwa v42, v21, v27 dst_sel:DWORD dst_unused:UNUSED_PAD src0_sel:WORD_1 src1_sel:DWORD
	v_mul_f16_sdwa v51, v21, v36 dst_sel:DWORD dst_unused:UNUSED_PAD src0_sel:WORD_1 src1_sel:DWORD
	v_add_f16_e32 v27, v24, v26
	v_pk_add_f16 v24, v11, v2 neg_lo:[0,1] neg_hi:[0,1]
	v_add_f16_e32 v28, v29, v28
	v_fmamk_f16 v29, v23, 0x3b76, v42
	v_fmamk_f16 v30, v23, 0x3722, v51
	v_pk_add_f16 v26, v2, v11
	v_mul_f16_sdwa v44, v24, v36 dst_sel:DWORD dst_unused:UNUSED_PAD src0_sel:WORD_1 src1_sel:DWORD
	v_mov_b32_e32 v131, 0xb836
	v_add_f16_e32 v29, v29, v27
	v_add_f16_e32 v30, v30, v28
	v_pk_add_f16 v27, v12, v7 neg_lo:[0,1] neg_hi:[0,1]
	v_fmamk_f16 v28, v26, 0x3722, v44
	v_mul_f16_sdwa v63, v24, v80 dst_sel:DWORD dst_unused:UNUSED_PAD src0_sel:WORD_1 src1_sel:DWORD
	v_mov_b32_e32 v142, 0x3bf7
	v_mov_b32_e32 v134, 0x3a62
	v_mul_f16_sdwa v48, v27, v131 dst_sel:DWORD dst_unused:UNUSED_PAD src0_sel:WORD_1 src1_sel:DWORD
	v_add_f16_e32 v31, v28, v29
	v_pk_add_f16 v29, v7, v12
	v_fmamk_f16 v32, v26, 0xbbdd, v63
	v_mul_f16_sdwa v69, v27, v142 dst_sel:DWORD dst_unused:UNUSED_PAD src0_sel:WORD_1 src1_sel:DWORD
	v_pk_add_f16 v28, v13, v6 neg_lo:[0,1] neg_hi:[0,1]
	v_mov_b32_e32 v132, 0xb5c8
	v_fmamk_f16 v34, v29, 0xbacd, v48
	v_add_f16_e32 v32, v32, v30
	v_fmamk_f16 v35, v29, 0x2de8, v69
	v_pk_add_f16 v30, v6, v13
	v_mul_f16_sdwa v52, v28, v134 dst_sel:DWORD dst_unused:UNUSED_PAD src0_sel:WORD_1 src1_sel:DWORD
	v_add_f16_e32 v34, v34, v31
	v_mul_f16_sdwa v76, v28, v132 dst_sel:DWORD dst_unused:UNUSED_PAD src0_sel:WORD_1 src1_sel:DWORD
	v_pk_add_f16 v31, v8, v9 neg_lo:[0,1] neg_hi:[0,1]
	v_mov_b32_e32 v146, 0xba62
	v_add_f16_e32 v35, v35, v32
	v_fmamk_f16 v37, v30, 0xb8d2, v52
	v_fmamk_f16 v38, v30, 0x3b76, v76
	v_pk_add_f16 v32, v9, v8
	v_mul_f16_sdwa v64, v31, v89 dst_sel:DWORD dst_unused:UNUSED_PAD src0_sel:WORD_1 src1_sel:DWORD
	v_mul_f16_sdwa v87, v31, v146 dst_sel:DWORD dst_unused:UNUSED_PAD src0_sel:WORD_1 src1_sel:DWORD
	;; [unrolled: 1-line block ×3, first 2 shown]
	v_mov_b32_e32 v145, 0xb964
	v_add_f16_e32 v34, v37, v34
	v_add_f16_e32 v37, v38, v35
	v_fmamk_f16 v35, v32, 0x39e9, v64
	v_fmamk_f16 v38, v32, 0xb8d2, v87
	v_lshrrev_b32_e32 v120, 16, v18
	v_mul_f16_e32 v65, 0xb964, v14
	v_fmamk_f16 v54, v18, 0x3b76, v47
	v_mul_f16_sdwa v49, v19, v145 dst_sel:DWORD dst_unused:UNUSED_PAD src0_sel:WORD_1 src1_sel:DWORD
	v_add_f16_e32 v35, v35, v34
	v_add_f16_e32 v34, v38, v37
	v_fma_f16 v37, v120, 0x39e9, -v65
	v_mul_f16_e32 v67, 0xbbf7, v19
	v_add_f16_e32 v38, v54, v4
	v_fmamk_f16 v54, v46, 0x39e9, v49
	v_mul_f16_sdwa v73, v14, v36 dst_sel:DWORD dst_unused:UNUSED_PAD src0_sel:WORD_1 src1_sel:DWORD
	v_add_f16_sdwa v37, v37, v4 dst_sel:DWORD dst_unused:UNUSED_PAD src0_sel:DWORD src1_sel:WORD_1
	v_fma_f16 v55, v17, 0x2de8, -v67
	v_mul_f16_e32 v83, 0xbb29, v14
	v_add_f16_e32 v38, v54, v38
	v_fmamk_f16 v54, v18, 0x3722, v73
	v_mul_f16_sdwa v74, v19, v146 dst_sel:DWORD dst_unused:UNUSED_PAD src0_sel:WORD_1 src1_sel:DWORD
	v_mul_f16_e32 v100, 0xbbf7, v14
	v_add_f16_e32 v37, v55, v37
	v_fma_f16 v55, v120, 0x3722, -v83
	v_add_f16_e32 v54, v54, v4
	v_fmamk_f16 v56, v46, 0xb8d2, v74
	v_mul_f16_e32 v85, 0xba62, v19
	v_fma_f16 v57, v120, 0x2de8, -v100
	v_mul_f16_e32 v101, 0xb1e1, v19
	v_add_f16_sdwa v55, v55, v4 dst_sel:DWORD dst_unused:UNUSED_PAD src0_sel:DWORD src1_sel:WORD_1
	v_mul_f16_e32 v128, 0xbbb2, v14
	v_fma_f16 v61, v17, 0xb8d2, -v85
	v_add_f16_e32 v54, v56, v54
	v_add_f16_sdwa v56, v57, v4 dst_sel:DWORD dst_unused:UNUSED_PAD src0_sel:DWORD src1_sel:WORD_1
	v_fma_f16 v57, v17, 0xbbdd, -v101
	v_fma_f16 v62, v120, 0xb461, -v128
	v_add_f16_e32 v55, v61, v55
	v_mul_f16_e32 v129, 0x3836, v19
	v_mul_f16_sdwa v61, v20, v36 dst_sel:DWORD dst_unused:UNUSED_PAD src0_sel:WORD_1 src1_sel:DWORD
	v_add_f16_e32 v36, v57, v56
	v_mov_b32_e32 v57, 0x31e1
	v_add_f16_sdwa v56, v62, v4 dst_sel:DWORD dst_unused:UNUSED_PAD src0_sel:DWORD src1_sel:WORD_1
	v_fma_f16 v62, v17, 0xbacd, -v129
	v_fmamk_f16 v66, v22, 0x3722, v61
	v_lshrrev_b32_e32 v123, 16, v22
	v_mul_f16_e32 v68, 0xba62, v20
	v_mul_f16_sdwa v81, v20, v57 dst_sel:DWORD dst_unused:UNUSED_PAD src0_sel:WORD_1 src1_sel:DWORD
	v_mul_f16_e32 v92, 0x31e1, v20
	v_add_f16_e32 v56, v62, v56
	v_add_f16_e32 v38, v66, v38
	v_fma_f16 v57, v123, 0xb8d2, -v68
	v_fmamk_f16 v62, v22, 0xbbdd, v81
	v_fma_f16 v66, v123, 0xbbdd, -v92
	v_mul_f16_e32 v111, 0x3bb2, v20
	v_mul_f16_e32 v135, 0x3964, v20
	v_add_f16_e32 v37, v57, v37
	v_add_f16_e32 v54, v62, v54
	;; [unrolled: 1-line block ×3, first 2 shown]
	v_fma_f16 v57, v123, 0xb461, -v111
	v_fma_f16 v62, v123, 0x39e9, -v135
	v_mul_f16_sdwa v66, v21, v79 dst_sel:DWORD dst_unused:UNUSED_PAD src0_sel:WORD_1 src1_sel:DWORD
	v_lshrrev_b32_e32 v125, 16, v23
	v_mul_f16_e32 v71, 0xb1e1, v21
	v_mul_f16_sdwa v77, v21, v130 dst_sel:DWORD dst_unused:UNUSED_PAD src0_sel:WORD_1 src1_sel:DWORD
	v_add_f16_e32 v36, v57, v36
	v_add_f16_e32 v56, v62, v56
	v_fmamk_f16 v57, v23, 0x2de8, v66
	v_fma_f16 v62, v125, 0xbbdd, -v71
	v_fmamk_f16 v70, v23, 0xb461, v77
	v_mul_f16_e32 v98, 0x3bb2, v21
	v_mul_f16_e32 v119, 0x35c8, v21
	v_add_f16_e32 v38, v57, v38
	v_add_f16_e32 v37, v62, v37
	v_add_f16_e32 v54, v70, v54
	v_fma_f16 v57, v125, 0xb461, -v98
	v_fma_f16 v62, v125, 0x3b76, -v119
	v_mul_f16_e32 v137, 0xbb29, v21
	v_mul_f16_sdwa v70, v24, v53 dst_sel:DWORD dst_unused:UNUSED_PAD src0_sel:WORD_1 src1_sel:DWORD
	v_lshrrev_b32_e32 v126, 16, v26
	v_mul_f16_e32 v78, 0x3836, v24
	v_add_f16_e32 v55, v57, v55
	v_add_f16_e32 v36, v62, v36
	v_fma_f16 v57, v125, 0x3722, -v137
	v_fmamk_f16 v62, v26, 0xb461, v70
	v_mul_f16_sdwa v82, v24, v89 dst_sel:DWORD dst_unused:UNUSED_PAD src0_sel:WORD_1 src1_sel:DWORD
	v_mul_f16_e32 v102, 0x3964, v24
	v_fma_f16 v72, v126, 0xbacd, -v78
	v_add_f16_e32 v56, v57, v56
	v_add_f16_e32 v38, v62, v38
	v_fmamk_f16 v57, v26, 0x39e9, v82
	v_fma_f16 v62, v126, 0x39e9, -v102
	v_mul_f16_e32 v121, 0xbb29, v24
	v_mul_f16_e32 v138, 0xb1e1, v24
	v_mul_f16_sdwa v75, v27, v146 dst_sel:DWORD dst_unused:UNUSED_PAD src0_sel:WORD_1 src1_sel:DWORD
	v_add_f16_e32 v37, v72, v37
	v_add_f16_e32 v54, v57, v54
	;; [unrolled: 1-line block ×3, first 2 shown]
	v_fma_f16 v57, v126, 0x3722, -v121
	v_fma_f16 v62, v126, 0xbbdd, -v138
	v_fmamk_f16 v72, v29, 0xb8d2, v75
	v_lshrrev_b32_e32 v127, 16, v29
	v_mul_f16_e32 v84, 0x3bb2, v27
	v_mul_f16_sdwa v88, v27, v132 dst_sel:DWORD dst_unused:UNUSED_PAD src0_sel:WORD_1 src1_sel:DWORD
	v_mul_f16_e32 v122, 0xb836, v27
	v_add_f16_e32 v36, v57, v36
	v_add_f16_e32 v56, v62, v56
	;; [unrolled: 1-line block ×3, first 2 shown]
	v_fma_f16 v57, v127, 0xb461, -v84
	v_mul_f16_e32 v108, 0xb5c8, v27
	v_mul_f16_e32 v141, 0x3bf7, v27
	v_fmamk_f16 v62, v29, 0x3b76, v88
	v_fma_f16 v72, v127, 0xbacd, -v122
	v_lshrrev_b32_e32 v136, 16, v30
	v_mul_f16_e32 v133, 0x3a62, v28
	v_add_f16_e32 v37, v57, v37
	v_fma_f16 v57, v127, 0x3b76, -v108
	v_fma_f16 v86, v127, 0x2de8, -v141
	v_add_f16_e32 v54, v62, v54
	v_pk_mul_f16 v62, 0x3b7639e9, v18
	v_add_f16_e32 v36, v72, v36
	v_fma_f16 v105, v136, 0xb8d2, -v133
	v_mul_f16_e32 v143, 0xb5c8, v28
	v_add_f16_e32 v55, v57, v55
	v_add_f16_e32 v56, v86, v56
	v_pk_mul_f16 v57, 0xbbf7b964, v19
	v_pk_fma_f16 v90, 0xb964b5c8, v14, v62 op_sel:[0,0,1] op_sel_hi:[1,1,0]
	v_mul_f16_sdwa v99, v28, v79 dst_sel:DWORD dst_unused:UNUSED_PAD src0_sel:WORD_1 src1_sel:DWORD
	v_add_f16_e32 v147, v105, v36
	v_fma_f16 v36, v136, 0x3b76, -v143
	v_pk_fma_f16 v105, 0xb964b5c8, v14, v62 op_sel:[0,0,1] op_sel_hi:[1,1,0] neg_lo:[0,1,0] neg_hi:[0,1,0]
	v_mul_f16_sdwa v86, v28, v131 dst_sel:DWORD dst_unused:UNUSED_PAD src0_sel:WORD_1 src1_sel:DWORD
	v_mul_f16_e32 v96, 0x3b29, v28
	v_pk_fma_f16 v91, 0x2de839e9, v17, v57
	v_add_f16_sdwa v72, v90, v4 dst_sel:DWORD dst_unused:UNUSED_PAD src0_sel:WORD_1 src1_sel:DWORD
	v_pk_mul_f16 v104, 0x3722b8d2, v22
	v_fmamk_f16 v97, v30, 0x2de8, v99
	v_mul_f16_sdwa v115, v31, v131 dst_sel:DWORD dst_unused:UNUSED_PAD src0_sel:WORD_1 src1_sel:DWORD
	v_add_f16_e32 v56, v36, v56
	v_pk_fma_f16 v106, 0x2de839e9, v17, v57 neg_lo:[0,0,1] neg_hi:[0,0,1]
	v_add_f16_sdwa v36, v105, v4 dst_sel:DWORD dst_unused:UNUSED_PAD src0_sel:DWORD src1_sel:WORD_1
	v_fmamk_f16 v94, v30, 0xbacd, v86
	v_fma_f16 v95, v136, 0x3722, -v96
	v_add_f16_sdwa v72, v91, v72 dst_sel:DWORD dst_unused:UNUSED_PAD src0_sel:WORD_1 src1_sel:DWORD
	v_pk_fma_f16 v93, 0xba62bb29, v20, v104 op_sel:[0,0,1] op_sel_hi:[1,1,0]
	v_pk_mul_f16 v110, 0x2de8bbdd, v23
	v_add_f16_e32 v54, v97, v54
	v_fmamk_f16 v57, v32, 0xbacd, v115
	v_pk_fma_f16 v107, 0xba62bb29, v20, v104 op_sel:[0,0,1] op_sel_hi:[1,1,0] neg_lo:[0,1,0] neg_hi:[0,1,0]
	v_add_f16_e32 v104, v106, v36
	v_add_f16_e32 v38, v94, v38
	;; [unrolled: 1-line block ×3, first 2 shown]
	v_add_f16_sdwa v37, v93, v72 dst_sel:DWORD dst_unused:UNUSED_PAD src0_sel:WORD_1 src1_sel:DWORD
	v_pk_fma_f16 v94, 0xb1e1bbf7, v21, v110 op_sel:[0,0,1] op_sel_hi:[1,1,0]
	v_pk_mul_f16 v72, 0xb461bacd, v26
	v_add_f16_e32 v36, v57, v54
	v_pk_fma_f16 v110, 0xb1e1bbf7, v21, v110 op_sel:[0,0,1] op_sel_hi:[1,1,0] neg_lo:[0,1,0] neg_hi:[0,1,0]
	v_add_f16_e32 v54, v107, v104
	v_mul_f16_e32 v109, 0xbbf7, v28
	v_add_f16_sdwa v37, v94, v37 dst_sel:DWORD dst_unused:UNUSED_PAD src0_sel:WORD_1 src1_sel:DWORD
	v_pk_fma_f16 v95, 0x3836bbb2, v24, v72 op_sel:[0,0,1] op_sel_hi:[1,1,0]
	v_pk_mul_f16 v113, 0xb8d2b461, v29
	v_lshrrev_b32_e32 v140, 16, v32
	v_mul_f16_e32 v118, 0x35c8, v31
	v_pk_fma_f16 v114, 0x3836bbb2, v24, v72 op_sel:[0,0,1] op_sel_hi:[1,1,0] neg_lo:[0,1,0] neg_hi:[0,1,0]
	v_add_f16_e32 v72, v110, v54
	v_fma_f16 v103, v136, 0x2de8, -v109
	v_add_f16_sdwa v37, v95, v37 dst_sel:DWORD dst_unused:UNUSED_PAD src0_sel:WORD_1 src1_sel:DWORD
	v_pk_fma_f16 v97, 0x3bb2ba62, v27, v113 op_sel:[0,0,1] op_sel_hi:[1,1,0]
	v_pk_mul_f16 v117, 0xbacd3722, v30
	v_fma_f16 v57, v140, 0x3b76, -v118
	v_pk_fma_f16 v116, 0x3bb2ba62, v27, v113 op_sel:[0,0,1] op_sel_hi:[1,1,0] neg_lo:[0,1,0] neg_hi:[0,1,0]
	v_add_f16_e32 v72, v114, v72
	v_add_f16_e32 v55, v103, v55
	v_add_f16_sdwa v37, v97, v37 dst_sel:DWORD dst_unused:UNUSED_PAD src0_sel:WORD_1 src1_sel:DWORD
	v_pk_fma_f16 v103, 0x3b29b836, v28, v117 op_sel:[0,0,1] op_sel_hi:[1,1,0]
	v_pk_mul_f16 v62, 0xbbdd3b76, v32
	v_mul_f16_e32 v124, 0xb836, v31
	v_add_f16_e32 v54, v57, v112
	v_mul_f16_e32 v139, 0x3964, v31
	v_mul_f16_e32 v144, 0xba62, v31
	v_pk_fma_f16 v113, 0x3b29b836, v28, v117 op_sel:[0,0,1] op_sel_hi:[1,1,0] neg_lo:[0,1,0] neg_hi:[0,1,0]
	v_mul_f16_sdwa v112, v31, v80 dst_sel:DWORD dst_unused:UNUSED_PAD src0_sel:WORD_1 src1_sel:DWORD
	v_add_f16_e32 v72, v116, v72
	v_add_f16_sdwa v37, v103, v37 dst_sel:DWORD dst_unused:UNUSED_PAD src0_sel:WORD_1 src1_sel:DWORD
	v_pk_fma_f16 v104, 0x35c8b1e1, v31, v62 op_sel:[0,0,1] op_sel_hi:[1,1,0]
	v_fma_f16 v57, v140, 0xbacd, -v124
	v_fma_f16 v148, v140, 0x39e9, -v139
	;; [unrolled: 1-line block ×3, first 2 shown]
	v_pk_fma_f16 v117, 0x35c8b1e1, v31, v62 op_sel:[0,0,1] op_sel_hi:[1,1,0] neg_lo:[0,1,0] neg_hi:[0,1,0]
	v_fmamk_f16 v62, v32, 0xbbdd, v112
	v_add_f16_e32 v150, v113, v72
	v_add_f16_sdwa v37, v104, v37 dst_sel:DWORD dst_unused:UNUSED_PAD src0_sel:WORD_1 src1_sel:DWORD
	v_add_f16_e32 v55, v57, v55
	v_add_f16_e32 v57, v148, v147
	;; [unrolled: 1-line block ×5, first 2 shown]
	v_mul_lo_u16 v62, v60, 17
	s_barrier
	buffer_gl0_inv
	s_and_saveexec_b32 s4, vcc_lo
	s_cbranch_execz .LBB0_7
; %bb.6:
	v_mul_f16_e32 v147, 0xb8d2, v120
	v_mul_f16_e32 v148, 0xb461, v17
	v_mul_f16_sdwa v146, v14, v146 dst_sel:DWORD dst_unused:UNUSED_PAD src0_sel:WORD_1 src1_sel:DWORD
	v_mul_f16_e32 v149, 0x3b76, v123
	v_mul_f16_sdwa v152, v19, v130 dst_sel:DWORD dst_unused:UNUSED_PAD src0_sel:WORD_1 src1_sel:DWORD
	v_fmamk_f16 v151, v14, 0x3a62, v147
	v_fmamk_f16 v154, v19, 0xbbb2, v148
	;; [unrolled: 1-line block ×3, first 2 shown]
	v_mul_f16_e32 v150, 0xbacd, v125
	v_mul_f16_sdwa v153, v20, v132 dst_sel:DWORD dst_unused:UNUSED_PAD src0_sel:WORD_1 src1_sel:DWORD
	v_add_f16_sdwa v151, v151, v4 dst_sel:DWORD dst_unused:UNUSED_PAD src0_sel:DWORD src1_sel:WORD_1
	v_fmamk_f16 v156, v46, 0xb461, v152
	v_add_f16_e32 v130, v130, v4
	v_fmamk_f16 v157, v20, 0x35c8, v149
	v_mul_f16_sdwa v155, v21, v131 dst_sel:DWORD dst_unused:UNUSED_PAD src0_sel:WORD_1 src1_sel:DWORD
	v_add_f16_e32 v151, v154, v151
	v_mul_f16_e32 v154, 0x2de8, v126
	v_fmamk_f16 v158, v22, 0x3b76, v153
	v_add_f16_e32 v130, v156, v130
	v_fmamk_f16 v156, v21, 0x3836, v150
	v_add_f16_e32 v151, v157, v151
	v_mul_f16_sdwa v142, v24, v142 dst_sel:DWORD dst_unused:UNUSED_PAD src0_sel:WORD_1 src1_sel:DWORD
	v_fmamk_f16 v157, v23, 0xbacd, v155
	v_add_f16_e32 v130, v158, v130
	v_fmamk_f16 v158, v24, 0xbbf7, v154
	v_add_f16_e32 v151, v156, v151
	v_mul_f16_e32 v156, 0x39e9, v127
	v_fmamk_f16 v159, v26, 0x2de8, v142
	v_add_f16_e32 v130, v157, v130
	v_mul_f16_sdwa v145, v27, v145 dst_sel:DWORD dst_unused:UNUSED_PAD src0_sel:WORD_1 src1_sel:DWORD
	v_add_f16_e32 v151, v158, v151
	v_fmamk_f16 v157, v27, 0x3964, v156
	v_mul_f16_e32 v158, 0xbbdd, v136
	v_add_f16_e32 v130, v159, v130
	v_fmamk_f16 v159, v29, 0x39e9, v145
	v_mul_f16_sdwa v161, v28, v80 dst_sel:DWORD dst_unused:UNUSED_PAD src0_sel:WORD_1 src1_sel:DWORD
	v_add_f16_e32 v151, v157, v151
	v_fmamk_f16 v157, v28, 0x31e1, v158
	v_mul_f16_e32 v163, 0x3722, v140
	v_add_f16_e32 v130, v159, v130
	v_mov_b32_e32 v166, 0x3b29
	v_mul_f16_sdwa v131, v14, v131 dst_sel:DWORD dst_unused:UNUSED_PAD src0_sel:WORD_1 src1_sel:DWORD
	v_add_f16_e32 v151, v157, v151
	v_fmamk_f16 v157, v30, 0xbbdd, v161
	v_mul_f16_sdwa v173, v20, v79 dst_sel:DWORD dst_unused:UNUSED_PAD src0_sel:WORD_1 src1_sel:DWORD
	v_mul_f16_e32 v160, 0xbacd, v120
	v_fmamk_f16 v170, v18, 0xbacd, v131
	v_mul_f16_sdwa v134, v21, v134 dst_sel:DWORD dst_unused:UNUSED_PAD src0_sel:WORD_1 src1_sel:DWORD
	v_add_f16_e32 v157, v157, v130
	v_fmamk_f16 v130, v31, 0xbb29, v163
	v_fmamk_f16 v159, v14, 0x3836, v160
	v_add_f16_e32 v170, v170, v4
	v_mul_f16_e32 v162, 0x3722, v17
	v_fmac_f16_e32 v160, 0xb836, v14
	v_add_f16_e32 v130, v130, v151
	v_mul_f16_sdwa v151, v31, v166 dst_sel:DWORD dst_unused:UNUSED_PAD src0_sel:WORD_1 src1_sel:DWORD
	v_mul_f16_sdwa v166, v19, v166 dst_sel:DWORD dst_unused:UNUSED_PAD src0_sel:WORD_1 src1_sel:DWORD
	;; [unrolled: 1-line block ×3, first 2 shown]
	v_fmamk_f16 v164, v19, 0xbb29, v162
	v_add_f16_sdwa v160, v160, v4 dst_sel:DWORD dst_unused:UNUSED_PAD src0_sel:DWORD src1_sel:WORD_1
	v_fmamk_f16 v169, v32, 0x3722, v151
	v_fmamk_f16 v172, v46, 0x3722, v166
	v_fmac_f16_e32 v162, 0x3b29, v19
	v_mul_f16_sdwa v89, v28, v89 dst_sel:DWORD dst_unused:UNUSED_PAD src0_sel:WORD_1 src1_sel:DWORD
	v_fma_f16 v131, v18, 0xbacd, -v131
	v_add_f16_e32 v79, v169, v157
	v_add_f16_e32 v157, v172, v170
	v_fmamk_f16 v169, v22, 0x2de8, v173
	v_mul_f16_sdwa v172, v27, v80 dst_sel:DWORD dst_unused:UNUSED_PAD src0_sel:WORD_1 src1_sel:DWORD
	v_add_f16_e32 v80, v162, v160
	v_fmac_f16_e32 v147, 0xba62, v14
	v_add_f16_e32 v131, v131, v4
	v_add_f16_e32 v157, v169, v157
	v_fmamk_f16 v169, v23, 0xb8d2, v134
	v_fmamk_f16 v162, v29, 0xbbdd, v172
	v_add_f16_sdwa v147, v147, v4 dst_sel:DWORD dst_unused:UNUSED_PAD src0_sel:DWORD src1_sel:WORD_1
	v_fmac_f16_e32 v148, 0x3bb2, v19
	v_fmac_f16_e32 v149, 0xb5c8, v20
	v_add_f16_e32 v157, v169, v157
	v_fmamk_f16 v169, v26, 0x3b76, v132
	v_fma_f16 v134, v23, 0xb8d2, -v134
	v_add_f16_e32 v147, v148, v147
	v_fmac_f16_e32 v150, 0xb836, v21
	v_fmac_f16_e32 v154, 0x3bf7, v24
	v_add_f16_e32 v157, v169, v157
	v_fmac_f16_e32 v156, 0xb964, v27
	v_add_f16_e32 v147, v149, v147
	v_fma_f16 v146, v18, 0xb8d2, -v146
	v_fma_f16 v152, v46, 0xb461, -v152
	v_add_f16_e32 v157, v162, v157
	v_fmamk_f16 v162, v30, 0x39e9, v89
	v_fma_f16 v153, v22, 0x3b76, -v153
	v_add_f16_e32 v146, v146, v4
	v_fma_f16 v155, v23, 0xbacd, -v155
	v_add_f16_sdwa v159, v159, v4 dst_sel:DWORD dst_unused:UNUSED_PAD src0_sel:DWORD src1_sel:WORD_1
	v_add_f16_e32 v157, v162, v157
	v_fma_f16 v162, v46, 0x3722, -v166
	v_add_f16_e32 v146, v152, v146
	v_mul_f16_e32 v152, 0x39e9, v123
	v_mul_f16_e32 v165, 0x2de8, v123
	v_fma_f16 v132, v26, 0x3b76, -v132
	v_add_f16_e32 v131, v162, v131
	v_fma_f16 v162, v22, 0x2de8, -v173
	v_add_f16_e32 v135, v135, v152
	v_mul_f16_e32 v152, 0x3722, v125
	v_add_f16_e32 v146, v153, v146
	v_fma_f16 v142, v26, 0x2de8, -v142
	v_add_f16_e32 v131, v162, v131
	v_add_f16_e32 v159, v164, v159
	;; [unrolled: 1-line block ×3, first 2 shown]
	v_mul_f16_e32 v152, 0xbbdd, v126
	v_add_f16_e32 v146, v155, v146
	v_add_f16_e32 v131, v134, v131
	;; [unrolled: 1-line block ×3, first 2 shown]
	v_fmamk_f16 v164, v20, 0x3bf7, v165
	v_mul_f16_e32 v167, 0xb8d2, v125
	v_add_f16_e32 v138, v138, v152
	v_add_f16_e32 v131, v132, v131
	;; [unrolled: 1-line block ×3, first 2 shown]
	v_mul_f16_e32 v154, 0xb461, v120
	v_fma_f16 v132, v29, 0xbbdd, -v172
	v_add_f16_e32 v142, v142, v146
	v_mul_f16_e32 v146, 0x2de8, v127
	v_add_f16_e32 v134, v156, v134
	v_mul_f16_e32 v156, 0xbacd, v17
	v_add_f16_e32 v128, v128, v154
	v_add_f16_e32 v159, v164, v159
	v_fmamk_f16 v164, v21, 0xba62, v167
	v_mul_f16_e32 v168, 0x3b76, v126
	v_add_f16_e32 v129, v129, v156
	v_add_f16_sdwa v128, v128, v4 dst_sel:DWORD dst_unused:UNUSED_PAD src0_sel:DWORD src1_sel:WORD_1
	v_mul_f16_e32 v156, 0xb461, v18
	v_mul_f16_sdwa v53, v31, v53 dst_sel:DWORD dst_unused:UNUSED_PAD src0_sel:WORD_1 src1_sel:DWORD
	v_add_f16_e32 v131, v132, v131
	v_fma_f16 v89, v30, 0x39e9, -v89
	v_add_f16_e32 v128, v129, v128
	v_mul_f16_e32 v129, 0x39e9, v46
	v_sub_f16_e32 v43, v156, v43
	v_fma_f16 v145, v29, 0x39e9, -v145
	v_add_f16_e32 v141, v141, v146
	v_add_f16_e32 v128, v135, v128
	v_mul_f16_e32 v135, 0xb8d2, v46
	v_add_f16_e32 v159, v164, v159
	v_fmamk_f16 v164, v24, 0x35c8, v168
	v_mul_f16_e32 v171, 0xbbdd, v127
	v_add_f16_e32 v128, v137, v128
	v_mul_f16_e32 v137, 0xbbdd, v46
	v_mul_f16_e32 v46, 0xbacd, v46
	v_fmamk_f16 v148, v32, 0xb461, v53
	v_add_f16_e32 v89, v89, v131
	v_add_f16_e32 v128, v138, v128
	v_fma_f16 v53, v32, 0xb461, -v53
	v_sub_f16_e32 v45, v46, v45
	v_add_f16_e32 v43, v43, v4
	v_add_f16_e32 v142, v145, v142
	v_mul_f16_e32 v145, 0x39e9, v22
	v_add_f16_e32 v128, v141, v128
	v_mul_f16_e32 v141, 0x3b76, v136
	v_add_f16_e32 v159, v164, v159
	v_fmamk_f16 v164, v27, 0x31e1, v171
	v_add_f16_e32 v147, v148, v157
	v_mul_f16_e32 v150, 0x39e9, v120
	v_add_f16_e32 v53, v53, v89
	v_mul_f16_e32 v89, 0x3722, v120
	v_mul_f16_e32 v120, 0x2de8, v120
	v_add_f16_e32 v43, v45, v43
	v_sub_f16_e32 v50, v145, v50
	v_mul_f16_e32 v145, 0x3722, v23
	v_add_f16_e32 v141, v143, v141
	v_fma_f16 v157, v30, 0xbbdd, -v161
	v_add_f16_e32 v159, v164, v159
	v_mul_f16_e32 v164, 0x39e9, v136
	v_fmac_f16_e32 v165, 0xbbf7, v20
	v_mul_f16_e32 v154, 0x2de8, v18
	v_mul_f16_e32 v152, 0xbbdd, v17
	v_add_f16_e32 v43, v50, v43
	v_sub_f16_e32 v51, v145, v51
	v_add_f16_e32 v142, v157, v142
	v_mul_f16_e32 v157, 0xbbdd, v26
	v_add_f16_e32 v128, v141, v128
	v_mul_f16_e32 v141, 0xb8d2, v140
	v_add_f16_e32 v100, v100, v120
	v_fmamk_f16 v170, v28, 0xb964, v164
	v_mul_f16_e32 v160, 0xb461, v140
	v_add_f16_e32 v80, v165, v80
	v_fmac_f16_e32 v167, 0x3a62, v21
	v_mul_f16_e32 v156, 0xb8d2, v123
	v_mul_f16_e32 v46, 0xbbdd, v123
	;; [unrolled: 1-line block ×3, first 2 shown]
	v_add_f16_e32 v43, v51, v43
	v_sub_f16_e32 v63, v157, v63
	v_add_f16_e32 v141, v144, v141
	v_mul_f16_e32 v144, 0x2de8, v29
	v_add_f16_e32 v101, v101, v152
	v_add_f16_sdwa v100, v100, v4 dst_sel:DWORD dst_unused:UNUSED_PAD src0_sel:DWORD src1_sel:WORD_1
	v_sub_f16_e32 v33, v154, v33
	v_add_f16_e32 v159, v170, v159
	v_fmamk_f16 v165, v31, 0x3bb2, v160
	v_add_f16_e32 v167, v167, v80
	v_fmac_f16_e32 v168, 0xb5c8, v24
	v_mul_f16_e32 v45, 0xb461, v22
	v_mul_f16_e32 v50, 0xbbdd, v125
	;; [unrolled: 1-line block ×4, first 2 shown]
	v_add_f16_e32 v43, v63, v43
	v_sub_f16_e32 v69, v144, v69
	v_add_f16_e32 v128, v141, v128
	v_mul_f16_e32 v141, 0x3b76, v30
	v_add_f16_e32 v100, v101, v100
	v_add_f16_e32 v111, v111, v123
	v_sub_f16_e32 v39, v137, v39
	v_add_f16_e32 v33, v33, v4
	v_add_f16_e32 v80, v165, v159
	;; [unrolled: 1-line block ×3, first 2 shown]
	v_fmac_f16_e32 v171, 0xb1e1, v27
	v_mul_f16_e32 v157, 0x3b76, v23
	v_mul_f16_e32 v144, 0xbacd, v126
	v_add_f16_e32 v43, v69, v43
	v_mul_f16_e32 v69, 0x39e9, v126
	v_mul_f16_e32 v126, 0x3722, v126
	v_sub_f16_e32 v76, v141, v76
	v_add_f16_e32 v100, v111, v100
	v_add_f16_e32 v119, v119, v125
	;; [unrolled: 1-line block ×3, first 2 shown]
	v_sub_f16_e32 v41, v45, v41
	v_add_f16_e32 v159, v171, v159
	v_fmac_f16_e32 v164, 0x3964, v28
	v_mul_f16_e32 v155, 0xb8d2, v17
	v_mul_f16_e32 v120, 0x3722, v26
	v_add_f16_e32 v43, v76, v43
	v_mul_f16_e32 v76, 0xb461, v127
	v_mul_f16_e32 v101, 0x3b76, v127
	;; [unrolled: 1-line block ×3, first 2 shown]
	v_add_f16_e32 v100, v119, v100
	v_add_f16_e32 v121, v121, v126
	v_add_f16_e32 v83, v83, v89
	v_add_f16_e32 v33, v41, v33
	v_sub_f16_e32 v41, v157, v42
	v_add_f16_e32 v149, v164, v159
	v_fmac_f16_e32 v160, 0xbbb2, v31
	v_mul_f16_e32 v123, 0xbacd, v29
	v_mul_f16_e32 v111, 0x3722, v136
	;; [unrolled: 1-line block ×4, first 2 shown]
	v_add_f16_e32 v42, v121, v100
	v_add_f16_e32 v100, v122, v127
	v_add_f16_sdwa v83, v83, v4 dst_sel:DWORD dst_unused:UNUSED_PAD src0_sel:DWORD src1_sel:WORD_1
	v_add_f16_e32 v85, v85, v155
	v_add_f16_e32 v33, v41, v33
	v_sub_f16_e32 v41, v120, v44
	v_add_f16_e32 v148, v160, v149
	v_alignbit_b32 v149, v4, v4, 16
	v_mul_f16_e32 v131, 0x3722, v18
	v_mul_f16_e32 v137, 0xb8d2, v30
	;; [unrolled: 1-line block ×5, first 2 shown]
	v_add_f16_e32 v42, v100, v42
	v_add_f16_e32 v44, v133, v136
	;; [unrolled: 1-line block ×5, first 2 shown]
	v_sub_f16_e32 v41, v123, v48
	v_alignbit_b32 v40, v40, v40, 16
	v_add_f16_e32 v42, v44, v42
	v_add_f16_e32 v44, v139, v140
	;; [unrolled: 1-line block ×5, first 2 shown]
	v_sub_f16_e32 v41, v137, v52
	v_sub_f16_e32 v51, v131, v73
	v_pk_add_f16 v5, v5, v149 op_sel:[0,1] op_sel_hi:[1,0]
	v_mul_f16_e32 v146, 0xbbdd, v22
	v_mul_f16_e32 v89, 0x39e9, v32
	v_add_f16_e32 v42, v44, v42
	v_add_f16_e32 v44, v48, v46
	;; [unrolled: 1-line block ×5, first 2 shown]
	v_sub_f16_e32 v48, v135, v74
	v_pk_add_f16 v5, v40, v5
	v_mul_f16_e32 v153, 0x2de8, v17
	v_mul_f16_e32 v145, 0xb461, v23
	v_fma_f16 v151, v32, 0x3722, -v151
	v_sub_f16_e32 v51, v89, v64
	v_add_f16_e32 v44, v46, v44
	v_add_f16_e32 v46, v108, v101
	;; [unrolled: 1-line block ×4, first 2 shown]
	v_sub_f16_e32 v48, v146, v81
	v_pk_add_f16 v5, v15, v5
	v_add_f16_e32 v142, v151, v142
	v_mul_f16_e32 v151, 0x39e9, v26
	v_mul_f16_e32 v141, 0xb8d2, v32
	v_add_f16_e32 v33, v51, v33
	v_add_f16_e32 v44, v46, v44
	v_add_f16_sdwa v46, v52, v4 dst_sel:DWORD dst_unused:UNUSED_PAD src0_sel:DWORD src1_sel:WORD_1
	v_add_f16_e32 v51, v67, v153
	v_add_f16_e32 v41, v48, v41
	v_sub_f16_e32 v48, v145, v77
	v_pk_add_f16 v5, v10, v5
	v_sub_f16_e32 v87, v141, v87
	v_mul_f16_e32 v141, 0x3b76, v29
	v_add_f16_e32 v46, v51, v46
	v_add_f16_e32 v51, v68, v156
	v_add_f16_e32 v40, v48, v41
	v_sub_f16_e32 v41, v151, v82
	v_pk_add_f16 v5, v11, v5
	v_mul_f16_e32 v132, 0x3b76, v18
	v_add_f16_e32 v46, v51, v46
	v_add_f16_e32 v15, v71, v50
	v_add_f16_e32 v40, v41, v40
	v_sub_f16_e32 v41, v141, v88
	v_pk_add_f16 v5, v12, v5
	;; [unrolled: 6-line block ×3, first 2 shown]
	v_sub_f16_e32 v12, v129, v49
	v_add_f16_e32 v10, v15, v10
	v_add_f16_e32 v15, v84, v76
	;; [unrolled: 1-line block ×3, first 2 shown]
	v_pk_add_f16 v5, v8, v5
	v_mul_f16_e32 v143, 0x2de8, v23
	v_mul_f16_e32 v125, 0x2de8, v30
	v_add_f16_e32 v10, v15, v10
	v_add_f16_e32 v15, v96, v111
	;; [unrolled: 1-line block ×3, first 2 shown]
	v_sub_f16_e32 v12, v138, v61
	v_pk_add_f16 v5, v9, v5
	v_mul_f16_e32 v63, 0xb461, v26
	v_mul_f16_e32 v39, 0xbacd, v32
	v_sub_f16_e32 v11, v125, v99
	v_add_f16_e32 v10, v15, v10
	v_add_f16_e32 v8, v118, v126
	;; [unrolled: 1-line block ×3, first 2 shown]
	v_sub_f16_e32 v12, v143, v66
	v_pk_add_f16 v5, v6, v5
	v_mul_f16_e32 v152, 0xb8d2, v29
	v_add_f16_e32 v11, v11, v40
	v_sub_f16_e32 v13, v39, v115
	v_add_f16_e32 v8, v8, v10
	v_add_f16_e32 v4, v12, v4
	v_sub_f16_e32 v10, v63, v70
	v_bfi_b32 v6, 0xffff, v90, v105
	v_pk_add_f16 v5, v7, v5
	v_add_f16_e32 v43, v87, v43
	v_mul_f16_e32 v87, 0xbacd, v30
	v_add_f16_e32 v9, v13, v11
	v_bfi_b32 v11, 0xffff, v91, v106
	v_add_f16_e32 v4, v10, v4
	v_sub_f16_e32 v7, v152, v75
	v_pk_add_f16 v2, v2, v5
	v_pk_add_f16 v5, v6, v149
	v_mul_f16_e32 v119, 0xbbdd, v32
	v_bfi_b32 v12, 0xffff, v93, v107
	v_add_f16_e32 v4, v7, v4
	v_sub_f16_e32 v6, v87, v86
	v_pk_add_f16 v2, v3, v2
	v_pk_add_f16 v5, v11, v5
	v_bfi_b32 v10, 0xffff, v94, v110
	v_pk_mul_f16 v11, 0xbbdd, v18 op_sel_hi:[0,1]
	v_add_f16_e32 v4, v6, v4
	v_sub_f16_e32 v6, v119, v112
	v_pk_add_f16 v0, v0, v2
	v_mov_b32_e32 v2, 2
	v_pk_add_f16 v5, v12, v5
	v_bfi_b32 v13, 0xffff, v95, v114
	v_add_f16_e32 v4, v6, v4
	v_pk_add_f16 v0, v1, v0
	v_lshlrev_b32_sdwa v1, v2, v62 dst_sel:DWORD dst_unused:UNUSED_PAD src0_sel:DWORD src1_sel:WORD_0
	v_pk_add_f16 v2, v10, v5
	v_pk_fma_f16 v5, 0xb1e1, v14, v11 op_sel:[0,0,1] op_sel_hi:[0,1,0] neg_lo:[0,1,0] neg_hi:[0,1,0]
	v_pk_mul_f16 v6, 0x35c8, v19 op_sel_hi:[0,1]
	v_pk_fma_f16 v10, 0xb1e1, v14, v11 op_sel:[0,0,1] op_sel_hi:[0,1,0]
	v_bfi_b32 v39, 0xffff, v97, v116
	v_pk_add_f16 v2, v13, v2
	v_pk_add_f16 v5, v5, v149
	v_pk_fma_f16 v11, 0x3b76, v17, v6 op_sel_hi:[0,1,1] neg_lo:[0,0,1] neg_hi:[0,0,1]
	v_pk_mul_f16 v12, 0xbacd, v22 op_sel_hi:[0,1]
	v_pk_add_f16 v10, v10, v149
	v_pk_fma_f16 v6, 0x3b76, v17, v6 op_sel_hi:[0,1,1]
	v_bfi_b32 v7, 0xffff, v103, v113
	v_pk_add_f16 v2, v39, v2
	v_pk_add_f16 v5, v11, v5
	v_pk_fma_f16 v11, 0xb836, v20, v12 op_sel:[0,0,1] op_sel_hi:[0,1,0] neg_lo:[0,1,0] neg_hi:[0,1,0]
	v_pk_mul_f16 v13, 0x39e9, v23 op_sel_hi:[0,1]
	v_pk_add_f16 v6, v6, v10
	v_pk_fma_f16 v10, 0xb836, v20, v12 op_sel:[0,0,1] op_sel_hi:[0,1,0]
	v_bfi_b32 v3, 0xffff, v104, v117
	v_pk_add_f16 v2, v7, v2
	v_pk_add_f16 v5, v11, v5
	v_pk_fma_f16 v7, 0x3964, v21, v13 op_sel:[0,0,1] op_sel_hi:[0,1,0] neg_lo:[0,1,0] neg_hi:[0,1,0]
	v_pk_mul_f16 v11, 0xb8d2, v26 op_sel_hi:[0,1]
	v_pk_add_f16 v6, v10, v6
	v_pk_fma_f16 v10, 0x3964, v21, v13 op_sel:[0,0,1] op_sel_hi:[0,1,0]
	v_pk_add_f16 v2, v3, v2
	v_pk_add_f16 v3, v7, v5
	v_pk_fma_f16 v5, 0xba62, v24, v11 op_sel:[0,0,1] op_sel_hi:[0,1,0] neg_lo:[0,1,0] neg_hi:[0,1,0]
	v_pk_mul_f16 v7, 0x3722, v29 op_sel_hi:[0,1]
	v_pk_add_f16 v6, v10, v6
	v_pk_fma_f16 v10, 0xba62, v24, v11 op_sel:[0,0,1] op_sel_hi:[0,1,0]
	v_pk_mul_f16 v11, 0xb461, v30 op_sel_hi:[0,1]
	v_pk_add_f16 v3, v5, v3
	v_pk_fma_f16 v5, 0x3b29, v27, v7 op_sel:[0,0,1] op_sel_hi:[0,1,0] neg_lo:[0,1,0] neg_hi:[0,1,0]
	v_pk_fma_f16 v7, 0x3b29, v27, v7 op_sel:[0,0,1] op_sel_hi:[0,1,0]
	v_pk_add_f16 v6, v10, v6
	v_add_f16_e32 v52, v109, v154
	v_fmac_f16_e32 v158, 0xb1e1, v28
	v_alignbit_b32 v8, v8, v2, 16
	v_pack_b32_f16 v2, v4, v2
	v_pk_add_f16 v3, v5, v3
	v_pk_fma_f16 v4, 0xbbb2, v28, v11 op_sel:[0,0,1] op_sel_hi:[0,1,0] neg_lo:[0,1,0] neg_hi:[0,1,0]
	v_pk_mul_f16 v5, 0x2de8, v32 op_sel_hi:[0,1]
	v_pk_add_f16 v6, v7, v6
	v_pk_fma_f16 v7, 0xbbb2, v28, v11 op_sel:[0,0,1] op_sel_hi:[0,1,0]
	v_add_f16_e32 v44, v52, v44
	v_add_f16_e32 v45, v124, v45
	;; [unrolled: 1-line block ×3, first 2 shown]
	v_fmac_f16_e32 v163, 0x3b29, v31
	v_pk_add_f16 v3, v4, v3
	v_pk_fma_f16 v4, 0x3bf7, v31, v5 op_sel:[0,0,1] op_sel_hi:[0,1,0] neg_lo:[0,1,0] neg_hi:[0,1,0]
	v_pk_add_f16 v6, v7, v6
	v_pk_fma_f16 v5, 0x3bf7, v31, v5 op_sel:[0,0,1] op_sel_hi:[0,1,0]
	v_add_f16_e32 v15, v45, v44
	v_add_f16_e32 v134, v163, v134
	v_pk_add_f16 v3, v4, v3
	v_pack_b32_f16 v10, v33, v42
	v_pk_add_f16 v4, v5, v6
	v_pack_b32_f16 v9, v9, v15
	v_pack_b32_f16 v7, v43, v128
	;; [unrolled: 1-line block ×3, first 2 shown]
	v_pk_add_f16 v0, v16, v0
	v_pack_b32_f16 v12, v53, v148
	ds_write2_b32 v1, v2, v8 offset0:1 offset1:2
	ds_write2_b32 v1, v9, v10 offset0:3 offset1:4
	;; [unrolled: 1-line block ×3, first 2 shown]
	ds_write2_b32 v1, v0, v12 offset1:7
	v_alignbit_b32 v0, v3, v4, 16
	v_alignbit_b32 v2, v4, v3, 16
	v_pack_b32_f16 v3, v79, v130
	v_pack_b32_f16 v4, v147, v80
	v_perm_b32 v5, v57, v35, 0x5040100
	v_perm_b32 v6, v72, v34, 0x5040100
	;; [unrolled: 1-line block ×5, first 2 shown]
	ds_write2_b32 v1, v2, v0 offset0:8 offset1:9
	ds_write2_b32 v1, v4, v3 offset0:10 offset1:11
	;; [unrolled: 1-line block ×4, first 2 shown]
	ds_write_b32 v1, v9 offset:64
.LBB0_7:
	s_or_b32 exec_lo, exec_lo, s4
	v_add_co_u32 v0, null, 0xaa, v60
	v_mov_b32_e32 v5, 0xf0f1
	v_and_b32_e32 v6, 0xff, v60
	v_add_co_u32 v14, null, 0x154, v60
	s_load_dwordx4 s[4:7], s[0:1], 0x0
	v_mul_u32_u24_sdwa v7, v0, v5 dst_sel:DWORD dst_unused:UNUSED_PAD src0_sel:WORD_0 src1_sel:DWORD
	v_mul_lo_u16 v1, 0xf1, v6
	v_mul_u32_u24_sdwa v8, v14, v5 dst_sel:DWORD dst_unused:UNUSED_PAD src0_sel:WORD_0 src1_sel:DWORD
	s_waitcnt lgkmcnt(0)
	s_barrier
	v_lshrrev_b32_e32 v15, 20, v7
	v_lshrrev_b16 v26, 12, v1
	v_lshrrev_b32_e32 v27, 20, v8
	buffer_gl0_inv
	v_mov_b32_e32 v39, 2
	v_mul_lo_u16 v1, v15, 17
	v_mul_lo_u16 v2, v26, 17
	v_add_co_u32 v31, null, 0x1fe, v60
	v_lshlrev_b32_sdwa v61, v39, v60 dst_sel:DWORD dst_unused:UNUSED_PAD src0_sel:DWORD src1_sel:WORD_0
	v_sub_nc_u16 v28, v0, v1
	v_sub_nc_u16 v1, v60, v2
	v_mul_lo_u16 v2, v27, 17
	v_mul_u32_u24_sdwa v5, v31, v5 dst_sel:DWORD dst_unused:UNUSED_PAD src0_sel:WORD_0 src1_sel:DWORD
	v_add_nc_u32_e32 v40, 0x400, v61
	v_mul_lo_u16 v3, v28, 12
	v_and_b32_e32 v29, 0xff, v1
	v_sub_nc_u16 v30, v14, v2
	v_add_nc_u32_e32 v41, 0x1400, v61
	v_add_nc_u32_e32 v42, 0xa00, v61
	v_and_b32_e32 v3, 0xffff, v3
	v_mad_u64_u32 v[1:2], null, v29, 12, s[2:3]
	v_mul_lo_u16 v9, v30, 12
	v_lshrrev_b32_e32 v45, 22, v7
	v_add_co_u32 v3, s0, s2, v3
	v_add_co_ci_u32_e64 v4, null, s3, 0, s0
	v_and_b32_e32 v9, 0xffff, v9
	s_clause 0x1
	global_load_dwordx3 v[22:24], v[1:2], off
	global_load_dwordx3 v[19:21], v[3:4], off
	v_mul_lo_u16 v4, 0x79, v6
	v_lshrrev_b32_e32 v46, 22, v8
	v_add_co_u32 v1, s0, s2, v9
	v_add_co_ci_u32_e64 v2, null, s3, 0, s0
	v_lshrrev_b32_e32 v47, 22, v5
	v_add_nc_u32_e32 v43, 0x1a00, v61
	v_lshrrev_b16 v44, 13, v4
	global_load_dwordx3 v[16:18], v[1:2], off
	v_add_nc_u32_e32 v1, 0xf00, v61
	ds_read2_b32 v[2:3], v61 offset1:170
	ds_read2_b32 v[4:5], v40 offset0:84 offset1:254
	ds_read2_b32 v[6:7], v1 offset0:60 offset1:230
	;; [unrolled: 1-line block ×5, first 2 shown]
	v_mul_lo_u16 v48, 0x44, v45
	v_mul_lo_u16 v49, 0x44, v46
	;; [unrolled: 1-line block ×3, first 2 shown]
	v_mov_b32_e32 v32, 0x44
	v_mul_lo_u16 v33, 0x44, v44
	v_sub_nc_u16 v48, v0, v48
	v_sub_nc_u16 v49, v14, v49
	;; [unrolled: 1-line block ×3, first 2 shown]
	v_mul_u32_u24_sdwa v26, v26, v32 dst_sel:DWORD dst_unused:UNUSED_PAD src0_sel:WORD_0 src1_sel:DWORD
	v_mad_u16 v14, 0x44, v15, v28
	v_mad_u16 v15, 0x44, v27, v30
	v_lshlrev_b16 v27, 3, v48
	v_lshlrev_b16 v28, 3, v49
	;; [unrolled: 1-line block ×3, first 2 shown]
	v_sub_nc_u16 v32, v60, v33
	v_add_lshl_u32 v66, v26, v29, 2
	v_lshlrev_b32_sdwa v65, v39, v14 dst_sel:DWORD dst_unused:UNUSED_PAD src0_sel:DWORD src1_sel:WORD_0
	v_and_b32_e32 v14, 0xffff, v27
	v_and_b32_e32 v27, 0xffff, v28
	;; [unrolled: 1-line block ×3, first 2 shown]
	s_waitcnt lgkmcnt(4)
	v_lshrrev_b32_e32 v29, 16, v5
	s_waitcnt lgkmcnt(3)
	v_lshrrev_b32_e32 v30, 16, v6
	;; [unrolled: 2-line block ×4, first 2 shown]
	v_lshrrev_b32_e32 v53, 16, v7
	s_waitcnt lgkmcnt(0)
	v_lshrrev_b32_e32 v63, 16, v12
	v_lshrrev_b32_e32 v68, 16, v11
	;; [unrolled: 1-line block ×5, first 2 shown]
	v_and_b32_e32 v51, 0xff, v32
	v_lshrrev_b32_e32 v32, 16, v3
	v_lshrrev_b32_e32 v67, 16, v4
	v_add_co_u32 v14, s0, s2, v14
	v_lshlrev_b32_e32 v26, 3, v51
	v_lshlrev_b32_sdwa v64, v39, v15 dst_sel:DWORD dst_unused:UNUSED_PAD src0_sel:DWORD src1_sel:WORD_0
	v_add_co_ci_u32_e64 v15, null, s3, 0, s0
	s_waitcnt vmcnt(0)
	s_barrier
	buffer_gl0_inv
	v_mul_f16_sdwa v71, v29, v22 dst_sel:DWORD dst_unused:UNUSED_PAD src0_sel:DWORD src1_sel:WORD_1
	v_mul_f16_sdwa v73, v5, v22 dst_sel:DWORD dst_unused:UNUSED_PAD src0_sel:DWORD src1_sel:WORD_1
	v_mul_f16_sdwa v74, v30, v23 dst_sel:DWORD dst_unused:UNUSED_PAD src0_sel:DWORD src1_sel:WORD_1
	v_mul_f16_sdwa v75, v6, v23 dst_sel:DWORD dst_unused:UNUSED_PAD src0_sel:DWORD src1_sel:WORD_1
	v_mul_f16_sdwa v76, v33, v24 dst_sel:DWORD dst_unused:UNUSED_PAD src0_sel:DWORD src1_sel:WORD_1
	v_mul_f16_sdwa v77, v9, v24 dst_sel:DWORD dst_unused:UNUSED_PAD src0_sel:DWORD src1_sel:WORD_1
	v_mul_f16_sdwa v78, v52, v19 dst_sel:DWORD dst_unused:UNUSED_PAD src0_sel:DWORD src1_sel:WORD_1
	v_mul_f16_sdwa v79, v10, v19 dst_sel:DWORD dst_unused:UNUSED_PAD src0_sel:DWORD src1_sel:WORD_1
	v_mul_f16_sdwa v80, v53, v20 dst_sel:DWORD dst_unused:UNUSED_PAD src0_sel:DWORD src1_sel:WORD_1
	v_mul_f16_sdwa v81, v7, v20 dst_sel:DWORD dst_unused:UNUSED_PAD src0_sel:DWORD src1_sel:WORD_1
	v_mul_f16_sdwa v82, v63, v21 dst_sel:DWORD dst_unused:UNUSED_PAD src0_sel:DWORD src1_sel:WORD_1
	v_mul_f16_sdwa v83, v12, v21 dst_sel:DWORD dst_unused:UNUSED_PAD src0_sel:DWORD src1_sel:WORD_1
	v_mul_f16_sdwa v84, v68, v16 dst_sel:DWORD dst_unused:UNUSED_PAD src0_sel:DWORD src1_sel:WORD_1
	v_mul_f16_sdwa v85, v11, v16 dst_sel:DWORD dst_unused:UNUSED_PAD src0_sel:DWORD src1_sel:WORD_1
	v_mul_f16_sdwa v86, v69, v17 dst_sel:DWORD dst_unused:UNUSED_PAD src0_sel:DWORD src1_sel:WORD_1
	v_mul_f16_sdwa v87, v8, v17 dst_sel:DWORD dst_unused:UNUSED_PAD src0_sel:DWORD src1_sel:WORD_1
	v_mul_f16_sdwa v88, v70, v18 dst_sel:DWORD dst_unused:UNUSED_PAD src0_sel:DWORD src1_sel:WORD_1
	v_mul_f16_sdwa v89, v13, v18 dst_sel:DWORD dst_unused:UNUSED_PAD src0_sel:DWORD src1_sel:WORD_1
	v_fma_f16 v5, v5, v22, -v71
	v_fmac_f16_e32 v73, v29, v22
	v_fma_f16 v6, v6, v23, -v74
	v_fmac_f16_e32 v75, v30, v23
	;; [unrolled: 2-line block ×9, first 2 shown]
	v_sub_f16_e32 v6, v2, v6
	v_sub_f16_e32 v29, v31, v75
	;; [unrolled: 1-line block ×12, first 2 shown]
	v_fma_f16 v2, v2, 2.0, -v6
	v_fma_f16 v31, v31, 2.0, -v29
	;; [unrolled: 1-line block ×4, first 2 shown]
	v_sub_f16_e32 v30, v6, v30
	v_add_f16_e32 v9, v29, v9
	v_fma_f16 v3, v3, 2.0, -v7
	v_fma_f16 v32, v32, 2.0, -v33
	;; [unrolled: 1-line block ×8, first 2 shown]
	v_sub_f16_e32 v5, v2, v5
	v_sub_f16_e32 v68, v31, v68
	;; [unrolled: 1-line block ×3, first 2 shown]
	v_add_f16_e32 v12, v33, v12
	v_fma_f16 v6, v6, 2.0, -v30
	v_fma_f16 v29, v29, 2.0, -v9
	v_pack_b32_f16 v9, v30, v9
	v_sub_f16_e32 v10, v3, v10
	v_sub_f16_e32 v30, v32, v69
	;; [unrolled: 1-line block ×3, first 2 shown]
	v_add_f16_e32 v13, v53, v13
	v_sub_f16_e32 v11, v4, v11
	v_sub_f16_e32 v69, v67, v70
	v_fma_f16 v2, v2, 2.0, -v5
	v_fma_f16 v31, v31, 2.0, -v68
	v_fma_f16 v7, v7, 2.0, -v52
	v_fma_f16 v33, v33, 2.0, -v12
	v_pack_b32_f16 v6, v6, v29
	v_fma_f16 v3, v3, 2.0, -v10
	v_fma_f16 v29, v32, 2.0, -v30
	;; [unrolled: 1-line block ×6, first 2 shown]
	v_pack_b32_f16 v5, v5, v68
	v_pack_b32_f16 v2, v2, v31
	;; [unrolled: 1-line block ×10, first 2 shown]
	ds_write2_b32 v66, v5, v9 offset0:34 offset1:51
	ds_write2_b32 v66, v2, v6 offset1:17
	ds_write2_b32 v65, v10, v12 offset0:34 offset1:51
	ds_write2_b32 v65, v3, v7 offset1:17
	ds_write2_b32 v64, v4, v8 offset1:17
	ds_write2_b32 v64, v11, v13 offset0:34 offset1:51
	v_add_co_u32 v2, s0, s2, v27
	v_add_co_ci_u32_e64 v3, null, s3, 0, s0
	v_add_co_u32 v4, s0, s2, v28
	s_waitcnt lgkmcnt(0)
	s_barrier
	buffer_gl0_inv
	s_clause 0x1
	global_load_dwordx2 v[32:33], v26, s[2:3] offset:204
	global_load_dwordx2 v[30:31], v[14:15], off offset:204
	v_add_co_ci_u32_e64 v5, null, s3, 0, s0
	s_clause 0x1
	global_load_dwordx2 v[28:29], v[2:3], off offset:204
	global_load_dwordx2 v[26:27], v[4:5], off offset:204
	v_mov_b32_e32 v8, 0xcc
	ds_read2_b32 v[2:3], v61 offset1:170
	ds_read2_b32 v[4:5], v42 offset0:40 offset1:210
	ds_read2_b32 v[6:7], v41 offset0:80 offset1:250
	v_mad_u16 v13, 0xcc, v45, v48
	v_mad_u16 v14, 0xcc, v46, v49
	;; [unrolled: 1-line block ×3, first 2 shown]
	v_mul_u32_u24_sdwa v12, v44, v8 dst_sel:DWORD dst_unused:UNUSED_PAD src0_sel:WORD_0 src1_sel:DWORD
	ds_read2_b32 v[40:41], v40 offset0:84 offset1:254
	ds_read2_b32 v[8:9], v1 offset0:60 offset1:230
	;; [unrolled: 1-line block ×3, first 2 shown]
	v_lshlrev_b32_sdwa v69, v39, v13 dst_sel:DWORD dst_unused:UNUSED_PAD src0_sel:DWORD src1_sel:WORD_0
	v_lshlrev_b32_sdwa v68, v39, v14 dst_sel:DWORD dst_unused:UNUSED_PAD src0_sel:DWORD src1_sel:WORD_0
	;; [unrolled: 1-line block ×3, first 2 shown]
	v_add_lshl_u32 v70, v12, v51, 2
	v_add_nc_u32_e32 v75, 0x600, v61
	v_add_nc_u32_e32 v76, 0xc00, v61
	;; [unrolled: 1-line block ×4, first 2 shown]
	s_waitcnt vmcnt(0) lgkmcnt(0)
	s_barrier
	buffer_gl0_inv
	v_cmp_gt_u16_e64 s0, 34, v60
	v_lshrrev_b32_e32 v12, 16, v2
	v_lshrrev_b32_e32 v13, 16, v4
	;; [unrolled: 1-line block ×12, first 2 shown]
	v_mul_f16_sdwa v48, v13, v32 dst_sel:DWORD dst_unused:UNUSED_PAD src0_sel:DWORD src1_sel:WORD_1
	v_mul_f16_sdwa v49, v4, v32 dst_sel:DWORD dst_unused:UNUSED_PAD src0_sel:DWORD src1_sel:WORD_1
	;; [unrolled: 1-line block ×16, first 2 shown]
	v_fma_f16 v4, v4, v32, -v48
	v_fmac_f16_e32 v49, v13, v32
	v_fma_f16 v6, v6, v33, -v50
	v_fmac_f16_e32 v51, v14, v33
	;; [unrolled: 2-line block ×8, first 2 shown]
	v_add_f16_e32 v14, v4, v6
	v_add_f16_e32 v44, v49, v51
	v_sub_f16_e32 v39, v49, v51
	v_add_f16_e32 v42, v12, v49
	v_add_f16_e32 v46, v5, v7
	v_add_f16_e32 v49, v53, v71
	v_add_f16_e32 v13, v2, v4
	v_add_f16_e32 v52, v8, v10
	v_add_f16_e32 v73, v74, v81
	v_sub_f16_e32 v4, v4, v6
	v_add_f16_e32 v50, v40, v8
	v_add_f16_e32 v63, v43, v74
	;; [unrolled: 1-line block ×3, first 2 shown]
	v_sub_f16_e32 v82, v83, v85
	v_add_f16_e32 v84, v77, v83
	v_add_f16_e32 v83, v83, v85
	v_fma_f16 v2, -0.5, v14, v2
	v_fmac_f16_e32 v12, -0.5, v44
	v_add_f16_e32 v45, v3, v5
	v_sub_f16_e32 v47, v53, v71
	v_add_f16_e32 v48, v15, v53
	v_sub_f16_e32 v5, v5, v7
	v_fmac_f16_e32 v3, -0.5, v46
	v_fmac_f16_e32 v15, -0.5, v49
	v_sub_f16_e32 v53, v74, v81
	v_sub_f16_e32 v8, v8, v10
	v_add_f16_e32 v6, v13, v6
	v_add_f16_e32 v13, v42, v51
	v_fma_f16 v42, -0.5, v52, v40
	v_fmac_f16_e32 v43, -0.5, v73
	v_add_f16_e32 v74, v41, v9
	v_sub_f16_e32 v9, v9, v11
	v_add_f16_e32 v10, v50, v10
	v_add_f16_e32 v44, v63, v81
	v_fmac_f16_e32 v41, -0.5, v78
	v_fmac_f16_e32 v77, -0.5, v83
	v_fmamk_f16 v46, v39, 0x3aee, v2
	v_fmac_f16_e32 v2, 0xbaee, v39
	v_fmamk_f16 v39, v4, 0xbaee, v12
	v_fmac_f16_e32 v12, 0x3aee, v4
	v_add_f16_e32 v7, v45, v7
	v_add_f16_e32 v14, v48, v71
	v_fmamk_f16 v4, v47, 0x3aee, v3
	v_fmac_f16_e32 v3, 0xbaee, v47
	v_fmamk_f16 v47, v5, 0xbaee, v15
	v_fmac_f16_e32 v15, 0x3aee, v5
	v_fmamk_f16 v5, v53, 0x3aee, v42
	v_fmamk_f16 v48, v8, 0xbaee, v43
	v_add_f16_e32 v11, v74, v11
	v_add_f16_e32 v45, v84, v85
	v_fmac_f16_e32 v42, 0xbaee, v53
	v_fmac_f16_e32 v43, 0x3aee, v8
	v_fmamk_f16 v40, v82, 0x3aee, v41
	v_fmac_f16_e32 v41, 0xbaee, v82
	v_fmamk_f16 v74, v9, 0xbaee, v77
	v_fmac_f16_e32 v77, 0x3aee, v9
	v_pack_b32_f16 v6, v6, v13
	v_pack_b32_f16 v8, v10, v44
	;; [unrolled: 1-line block ×12, first 2 shown]
	ds_write2_b32 v70, v6, v10 offset1:68
	ds_write_b32 v70, v2 offset:544
	ds_write2_b32 v69, v7, v4 offset1:68
	ds_write_b32 v69, v3 offset:544
	ds_write2_b32 v68, v8, v5 offset1:68
	ds_write_b32 v68, v11 offset:544
	ds_write2_b32 v67, v9, v12 offset1:68
	ds_write_b32 v67, v13 offset:544
	s_waitcnt lgkmcnt(0)
	s_barrier
	buffer_gl0_inv
	ds_read2_b32 v[42:43], v61 offset1:204
	ds_read2_b32 v[52:53], v75 offset0:24 offset1:228
	ds_read2_b32 v[50:51], v76 offset0:48 offset1:252
	;; [unrolled: 1-line block ×4, first 2 shown]
                                        ; implicit-def: $vgpr78
                                        ; implicit-def: $vgpr44
                                        ; implicit-def: $vgpr82
                                        ; implicit-def: $vgpr83
	s_and_saveexec_b32 s1, s0
	s_cbranch_execz .LBB0_9
; %bb.8:
	v_add_nc_u32_e32 v2, 0x200, v61
	v_add_nc_u32_e32 v3, 0x900, v61
	ds_read2_b32 v[36:37], v1 offset0:26 offset1:230
	v_add_nc_u32_e32 v1, 0x1500, v61
	ds_read2_b32 v[40:41], v2 offset0:42 offset1:246
	;; [unrolled: 2-line block ×3, first 2 shown]
	ds_read2_b32 v[38:39], v1 offset0:50 offset1:254
	ds_read2_b32 v[44:45], v2 offset0:10 offset1:214
	s_waitcnt lgkmcnt(4)
	v_lshrrev_b32_e32 v55, 16, v36
	v_lshrrev_b32_e32 v54, 16, v37
	s_waitcnt lgkmcnt(3)
	v_lshrrev_b32_e32 v74, 16, v40
	v_lshrrev_b32_e32 v77, 16, v41
	;; [unrolled: 3-line block ×5, first 2 shown]
.LBB0_9:
	s_or_b32 exec_lo, exec_lo, s1
	v_mad_u64_u32 v[1:2], null, v60, 36, s[2:3]
	s_waitcnt lgkmcnt(3)
	v_lshrrev_b32_e32 v86, 16, v53
	s_waitcnt lgkmcnt(2)
	v_lshrrev_b32_e32 v87, 16, v50
	v_lshrrev_b32_e32 v88, 16, v51
	s_waitcnt lgkmcnt(1)
	v_lshrrev_b32_e32 v89, 16, v48
	;; [unrolled: 3-line block ×3, first 2 shown]
	s_clause 0x2
	global_load_dwordx4 v[12:15], v[1:2], off offset:748
	global_load_dwordx4 v[8:11], v[1:2], off offset:764
	global_load_dword v71, v[1:2], off offset:780
	v_subrev_nc_u32_e32 v1, 34, v60
	v_lshrrev_b32_e32 v92, 16, v47
	v_lshrrev_b32_e32 v73, 16, v42
	v_cndmask_b32_e64 v0, v1, v0, s0
	v_mul_i32_i24_e32 v1, 36, v0
	v_mul_hi_i32_i24_e32 v0, 36, v0
	v_add_co_u32 v84, s1, s2, v1
	v_add_co_ci_u32_e64 v85, s1, s3, v0, s1
	s_clause 0x2
	global_load_dwordx4 v[0:3], v[84:85], off offset:748
	global_load_dwordx4 v[4:7], v[84:85], off offset:764
	global_load_dword v63, v[84:85], off offset:780
	v_lshrrev_b32_e32 v84, 16, v43
	v_lshrrev_b32_e32 v85, 16, v52
	s_waitcnt vmcnt(5)
	v_mul_f16_sdwa v93, v84, v12 dst_sel:DWORD dst_unused:UNUSED_PAD src0_sel:DWORD src1_sel:WORD_1
	v_mul_f16_sdwa v81, v43, v12 dst_sel:DWORD dst_unused:UNUSED_PAD src0_sel:DWORD src1_sel:WORD_1
	;; [unrolled: 1-line block ×8, first 2 shown]
	s_waitcnt vmcnt(4)
	v_mul_f16_sdwa v100, v88, v8 dst_sel:DWORD dst_unused:UNUSED_PAD src0_sel:DWORD src1_sel:WORD_1
	v_mul_f16_sdwa v101, v51, v8 dst_sel:DWORD dst_unused:UNUSED_PAD src0_sel:DWORD src1_sel:WORD_1
	;; [unrolled: 1-line block ×8, first 2 shown]
	s_waitcnt vmcnt(3)
	v_mul_f16_sdwa v108, v92, v71 dst_sel:DWORD dst_unused:UNUSED_PAD src0_sel:DWORD src1_sel:WORD_1
	v_mul_f16_sdwa v109, v47, v71 dst_sel:DWORD dst_unused:UNUSED_PAD src0_sel:DWORD src1_sel:WORD_1
	v_fma_f16 v43, v43, v12, -v93
	v_fmac_f16_e32 v81, v84, v12
	v_fma_f16 v52, v52, v13, -v94
	v_fmac_f16_e32 v95, v85, v13
	;; [unrolled: 2-line block ×9, first 2 shown]
	v_add_f16_e32 v84, v42, v52
	v_add_f16_e32 v85, v50, v48
	v_sub_f16_e32 v88, v52, v50
	v_sub_f16_e32 v89, v46, v48
	v_add_f16_e32 v90, v52, v46
	v_sub_f16_e32 v91, v50, v52
	v_sub_f16_e32 v92, v48, v46
	v_add_f16_e32 v93, v73, v95
	v_add_f16_e32 v94, v99, v103
	v_sub_f16_e32 v98, v95, v99
	v_sub_f16_e32 v100, v107, v103
	v_add_f16_e32 v102, v95, v107
	v_add_f16_e32 v106, v43, v53
	;; [unrolled: 1-line block ×7, first 2 shown]
	s_waitcnt vmcnt(2)
	v_mul_f16_sdwa v124, v77, v0 dst_sel:DWORD dst_unused:UNUSED_PAD src0_sel:DWORD src1_sel:WORD_1
	v_mul_f16_sdwa v125, v41, v0 dst_sel:DWORD dst_unused:UNUSED_PAD src0_sel:DWORD src1_sel:WORD_1
	;; [unrolled: 1-line block ×8, first 2 shown]
	s_waitcnt vmcnt(1)
	v_mul_f16_sdwa v132, v54, v4 dst_sel:DWORD dst_unused:UNUSED_PAD src0_sel:DWORD src1_sel:WORD_1
	v_mul_f16_sdwa v133, v37, v4 dst_sel:DWORD dst_unused:UNUSED_PAD src0_sel:DWORD src1_sel:WORD_1
	;; [unrolled: 1-line block ×7, first 2 shown]
	s_waitcnt vmcnt(0)
	v_mul_f16_sdwa v140, v83, v63 dst_sel:DWORD dst_unused:UNUSED_PAD src0_sel:DWORD src1_sel:WORD_1
	v_mul_f16_sdwa v141, v45, v63 dst_sel:DWORD dst_unused:UNUSED_PAD src0_sel:DWORD src1_sel:WORD_1
	v_sub_f16_e32 v86, v95, v107
	v_sub_f16_e32 v87, v99, v103
	;; [unrolled: 1-line block ×14, first 2 shown]
	v_mul_f16_sdwa v135, v38, v5 dst_sel:DWORD dst_unused:UNUSED_PAD src0_sel:DWORD src1_sel:WORD_1
	v_add_f16_e32 v50, v84, v50
	v_fma_f16 v84, -0.5, v85, v42
	v_add_f16_e32 v85, v88, v89
	v_fmac_f16_e32 v42, -0.5, v90
	v_add_f16_e32 v88, v91, v92
	v_add_f16_e32 v89, v93, v99
	v_fma_f16 v93, -0.5, v94, v73
	v_add_f16_e32 v90, v98, v100
	v_fmac_f16_e32 v73, -0.5, v102
	v_add_f16_e32 v51, v106, v51
	v_fma_f16 v92, -0.5, v108, v43
	v_fmac_f16_e32 v43, -0.5, v114
	v_add_f16_e32 v98, v117, v101
	v_fma_f16 v99, -0.5, v118, v81
	v_fmac_f16_e32 v81, -0.5, v122
	v_fma_f16 v41, v41, v0, -v124
	v_fmac_f16_e32 v125, v77, v0
	v_fma_f16 v34, v34, v1, -v126
	v_fmac_f16_e32 v127, v72, v1
	;; [unrolled: 2-line block ×5, first 2 shown]
	v_fma_f16 v38, v38, v5, -v134
	v_fma_f16 v39, v39, v6, -v136
	v_fmac_f16_e32 v137, v78, v6
	v_fma_f16 v54, v44, v7, -v138
	v_fmac_f16_e32 v139, v82, v7
	;; [unrolled: 2-line block ×3, first 2 shown]
	v_sub_f16_e32 v52, v52, v46
	v_sub_f16_e32 v113, v47, v49
	;; [unrolled: 1-line block ×4, first 2 shown]
	v_add_f16_e32 v91, v95, v104
	v_add_f16_e32 v95, v115, v116
	v_add_f16_e32 v100, v120, v121
	v_fmac_f16_e32 v135, v56, v5
	v_add_f16_e32 v44, v50, v48
	v_fmamk_f16 v50, v86, 0x3b9c, v84
	v_fmac_f16_e32 v84, 0xbb9c, v86
	v_add_f16_e32 v48, v89, v103
	v_fmamk_f16 v83, v96, 0x3b9c, v73
	;; [unrolled: 3-line block ×3, first 2 shown]
	v_fmac_f16_e32 v92, 0xbb9c, v110
	v_fmamk_f16 v56, v111, 0xbb9c, v43
	v_fmac_f16_e32 v43, 0x3b9c, v111
	v_add_f16_e32 v57, v98, v105
	v_fmamk_f16 v82, v53, 0xbb9c, v99
	v_fmamk_f16 v89, v119, 0x3b9c, v81
	v_fmac_f16_e32 v81, 0xbb9c, v119
	v_sub_f16_e32 v98, v127, v139
	v_sub_f16_e32 v102, v34, v36
	;; [unrolled: 1-line block ×5, first 2 shown]
	v_add_f16_e32 v108, v74, v127
	v_sub_f16_e32 v114, v127, v131
	v_add_f16_e32 v116, v127, v139
	v_sub_f16_e32 v117, v131, v127
	v_add_f16_e32 v120, v41, v35
	v_add_f16_e32 v121, v37, v39
	;; [unrolled: 1-line block ×8, first 2 shown]
	v_fmamk_f16 v55, v87, 0xbb9c, v42
	v_fmac_f16_e32 v42, 0x3b9c, v87
	v_fmamk_f16 v72, v52, 0xbb9c, v93
	v_fmac_f16_e32 v93, 0x3b9c, v52
	v_fmac_f16_e32 v99, 0x3b9c, v53
	v_add_f16_e32 v77, v40, v34
	v_add_f16_e32 v78, v36, v38
	;; [unrolled: 1-line block ×4, first 2 shown]
	v_sub_f16_e32 v122, v129, v141
	v_sub_f16_e32 v123, v133, v137
	;; [unrolled: 1-line block ×6, first 2 shown]
	v_fmac_f16_e32 v50, 0x38b4, v87
	v_fmac_f16_e32 v84, 0xb8b4, v87
	v_add_f16_e32 v48, v48, v107
	v_fmac_f16_e32 v83, 0xb8b4, v52
	v_fmac_f16_e32 v73, 0x38b4, v52
	v_add_f16_e32 v47, v49, v47
	v_fmac_f16_e32 v51, 0x38b4, v111
	v_fmac_f16_e32 v92, 0xb8b4, v111
	;; [unrolled: 1-line block ×3, first 2 shown]
	v_add_f16_e32 v49, v57, v109
	v_fmac_f16_e32 v82, 0xb8b4, v119
	v_fmac_f16_e32 v89, 0xb8b4, v53
	v_fmac_f16_e32 v81, 0x38b4, v53
	v_add_f16_e32 v52, v102, v103
	v_add_f16_e32 v53, v105, v106
	;; [unrolled: 1-line block ×3, first 2 shown]
	v_fma_f16 v103, -0.5, v121, v41
	v_fmac_f16_e32 v41, -0.5, v127
	v_add_f16_e32 v106, v132, v133
	v_fma_f16 v107, -0.5, v134, v125
	v_fmac_f16_e32 v125, -0.5, v142
	v_sub_f16_e32 v101, v131, v135
	v_sub_f16_e32 v113, v36, v38
	;; [unrolled: 1-line block ×8, first 2 shown]
	v_add_f16_e32 v46, v44, v46
	v_fmac_f16_e32 v55, 0x38b4, v86
	v_fmac_f16_e32 v42, 0xb8b4, v86
	;; [unrolled: 1-line block ×5, first 2 shown]
	v_add_f16_e32 v36, v77, v36
	v_fma_f16 v86, -0.5, v78, v40
	v_fmac_f16_e32 v40, -0.5, v104
	v_add_f16_e32 v57, v108, v131
	v_fma_f16 v102, -0.5, v112, v74
	v_fmac_f16_e32 v74, -0.5, v116
	v_fmac_f16_e32 v50, 0x34f2, v85
	v_fmac_f16_e32 v84, 0x34f2, v85
	;; [unrolled: 1-line block ×7, first 2 shown]
	v_add_f16_e32 v77, v48, v49
	v_sub_f16_e32 v78, v48, v49
	v_add_f16_e32 v37, v37, v39
	v_fmamk_f16 v39, v122, 0x3b9c, v103
	v_fmac_f16_e32 v103, 0xbb9c, v122
	v_fmamk_f16 v49, v123, 0xbb9c, v41
	v_fmac_f16_e32 v41, 0x3b9c, v123
	v_add_f16_e32 v48, v106, v137
	v_fmamk_f16 v85, v35, 0xbb9c, v107
	v_fmac_f16_e32 v107, 0x3b9c, v35
	v_fmamk_f16 v106, v136, 0x3b9c, v125
	v_fmac_f16_e32 v125, 0xbb9c, v136
	v_fmac_f16_e32 v56, 0x38b4, v110
	v_sub_f16_e32 v34, v34, v54
	v_sub_f16_e32 v118, v135, v139
	v_add_f16_e32 v104, v124, v126
	v_add_f16_e32 v105, v128, v130
	;; [unrolled: 1-line block ×4, first 2 shown]
	v_fmac_f16_e32 v72, 0x34f2, v90
	v_fmac_f16_e32 v93, 0x34f2, v90
	;; [unrolled: 1-line block ×6, first 2 shown]
	v_add_f16_e32 v44, v46, v47
	v_sub_f16_e32 v47, v46, v47
	v_add_f16_e32 v36, v36, v38
	v_fmamk_f16 v100, v101, 0xbb9c, v40
	v_fmac_f16_e32 v40, 0x3b9c, v101
	v_add_f16_e32 v46, v57, v135
	v_fmamk_f16 v111, v113, 0x3b9c, v74
	v_fmac_f16_e32 v74, 0xbb9c, v113
	v_mul_f16_e32 v57, 0x38b4, v82
	v_mul_f16_e32 v90, 0x34f2, v43
	;; [unrolled: 1-line block ×5, first 2 shown]
	v_fmac_f16_e32 v39, 0x38b4, v123
	v_fmac_f16_e32 v103, 0xb8b4, v123
	;; [unrolled: 1-line block ×8, first 2 shown]
	v_sub_f16_e32 v115, v139, v135
	v_fmac_f16_e32 v56, 0x34f2, v95
	v_add_f16_e32 v96, v117, v118
	v_fmac_f16_e32 v55, 0x34f2, v88
	v_fmac_f16_e32 v42, 0x34f2, v88
	v_fmamk_f16 v38, v98, 0x3b9c, v86
	v_fmac_f16_e32 v86, 0xbb9c, v98
	v_fmamk_f16 v110, v34, 0xbb9c, v102
	v_fmac_f16_e32 v102, 0x3b9c, v34
	v_mul_f16_e32 v88, 0x3b9c, v89
	v_mul_f16_e32 v95, 0x3a79, v99
	v_add_f16_e32 v36, v36, v54
	v_fmac_f16_e32 v100, 0x38b4, v98
	v_fmac_f16_e32 v40, 0xb8b4, v98
	;; [unrolled: 1-line block ×4, first 2 shown]
	v_add_f16_e32 v34, v37, v45
	v_fmac_f16_e32 v57, 0x3a79, v51
	v_fma_f16 v35, v81, 0x3b9c, -v90
	v_fma_f16 v37, v99, 0x38b4, -v91
	v_fmac_f16_e32 v112, 0x3a79, v82
	v_fma_f16 v51, v43, 0xbb9c, -v94
	v_fmac_f16_e32 v39, 0x34f2, v104
	v_fmac_f16_e32 v103, 0x34f2, v104
	;; [unrolled: 1-line block ×8, first 2 shown]
	v_add_f16_e32 v87, v114, v115
	v_mul_f16_e32 v114, 0xbb9c, v56
	v_fmac_f16_e32 v38, 0x38b4, v101
	v_fmac_f16_e32 v86, 0xb8b4, v101
	v_add_f16_e32 v98, v46, v139
	v_fmac_f16_e32 v110, 0xb8b4, v113
	v_fmac_f16_e32 v102, 0x38b4, v113
	v_add_f16_e32 v101, v48, v141
	v_fmac_f16_e32 v88, 0x34f2, v56
	v_fma_f16 v81, v92, 0xb8b4, -v95
	v_fmac_f16_e32 v100, 0x34f2, v53
	v_fmac_f16_e32 v40, 0x34f2, v53
	;; [unrolled: 1-line block ×4, first 2 shown]
	v_add_f16_e32 v48, v36, v34
	v_sub_f16_e32 v43, v36, v34
	v_add_f16_e32 v45, v50, v57
	v_add_f16_e32 v53, v42, v35
	v_add_f16_e32 v46, v84, v37
	v_add_f16_e32 v96, v72, v112
	v_add_f16_e32 v95, v73, v51
	v_sub_f16_e32 v54, v50, v57
	v_sub_f16_e32 v56, v42, v35
	;; [unrolled: 1-line block ×5, first 2 shown]
	v_mul_f16_e32 v34, 0x38b4, v85
	v_mul_f16_e32 v35, 0x3b9c, v106
	;; [unrolled: 1-line block ×8, first 2 shown]
	v_fmac_f16_e32 v114, 0x34f2, v89
	v_fmac_f16_e32 v38, 0x34f2, v52
	;; [unrolled: 1-line block ×5, first 2 shown]
	v_add_f16_e32 v52, v55, v88
	v_add_f16_e32 v94, v93, v81
	v_sub_f16_e32 v55, v55, v88
	v_sub_f16_e32 v88, v93, v81
	v_fmac_f16_e32 v34, 0x3a79, v39
	v_fmac_f16_e32 v35, 0x34f2, v49
	v_fma_f16 v36, v125, 0x3b9c, -v36
	v_fma_f16 v39, v107, 0x38b4, -v37
	v_fmac_f16_e32 v72, 0x3a79, v85
	v_fmac_f16_e32 v73, 0x34f2, v106
	v_fma_f16 v41, v41, 0xbb9c, -v42
	v_fma_f16 v81, v103, 0xb8b4, -v50
	v_add_f16_e32 v97, v83, v114
	v_sub_f16_e32 v91, v83, v114
	v_add_f16_e32 v82, v98, v101
	v_add_f16_e32 v49, v38, v34
	;; [unrolled: 1-line block ×9, first 2 shown]
	v_sub_f16_e32 v83, v38, v34
	v_sub_f16_e32 v37, v100, v35
	;; [unrolled: 1-line block ×9, first 2 shown]
	v_pack_b32_f16 v36, v44, v77
	v_pack_b32_f16 v38, v45, v96
	;; [unrolled: 1-line block ×10, first 2 shown]
	ds_write2_b32 v61, v36, v38 offset1:204
	ds_write2_b32 v75, v39, v40 offset0:24 offset1:228
	ds_write2_b32 v76, v41, v81 offset0:48 offset1:252
	;; [unrolled: 1-line block ×4, first 2 shown]
	s_and_saveexec_b32 s1, s0
	s_cbranch_execz .LBB0_11
; %bb.10:
	v_perm_b32 v36, v82, v48, 0x5040100
	v_perm_b32 v38, v93, v49, 0x5040100
	v_add_nc_u32_e32 v39, 0x200, v61
	v_perm_b32 v40, v89, v50, 0x5040100
	v_perm_b32 v41, v87, v51, 0x5040100
	v_add_nc_u32_e32 v75, 0x900, v61
	;; [unrolled: 3-line block ×5, first 2 shown]
	ds_write2_b32 v39, v36, v38 offset0:42 offset1:246
	ds_write2_b32 v75, v40, v41 offset0:2 offset1:206
	;; [unrolled: 1-line block ×5, first 2 shown]
.LBB0_11:
	s_or_b32 exec_lo, exec_lo, s1
	s_waitcnt lgkmcnt(0)
	s_barrier
	buffer_gl0_inv
	s_and_saveexec_b32 s8, vcc_lo
	s_cbranch_execz .LBB0_13
; %bb.12:
	s_add_u32 s2, s12, 0x1fe0
	s_addc_u32 s3, s13, 0
	v_add_co_u32 v75, s1, s2, v59
	global_load_dword v36, v59, s[2:3]
	v_add_co_ci_u32_e64 v76, null, s3, 0, s1
	v_add_co_u32 v38, s1, 0x800, v75
	v_add_nc_u32_e32 v121, 0x400, v59
	v_add_co_ci_u32_e64 v39, s1, 0, v76, s1
	v_add_co_u32 v40, s1, 0x1000, v75
	v_add_co_ci_u32_e64 v41, s1, 0, v76, s1
	s_clause 0x9
	global_load_dword v81, v59, s[2:3] offset:480
	global_load_dword v106, v59, s[2:3] offset:960
	;; [unrolled: 1-line block ×4, first 2 shown]
	global_load_dword v109, v[38:39], off offset:352
	global_load_dword v110, v[38:39], off offset:832
	;; [unrolled: 1-line block ×6, first 2 shown]
	v_add_co_u32 v38, s1, 0x1800, v75
	v_add_co_ci_u32_e64 v39, s1, 0, v76, s1
	s_clause 0x2
	global_load_dword v115, v[40:41], off offset:1184
	global_load_dword v116, v[40:41], off offset:1664
	;; [unrolled: 1-line block ×3, first 2 shown]
	v_or_b32_e32 v40, 0x1e00, v59
	s_clause 0x2
	global_load_dword v118, v[38:39], off offset:576
	global_load_dword v119, v[38:39], off offset:1056
	global_load_dword v120, v40, s[2:3]
	ds_read_b32 v38, v61
	v_add_nc_u32_e32 v122, 0xc00, v59
	v_add_nc_u32_e32 v123, 0x1000, v59
	;; [unrolled: 1-line block ×5, first 2 shown]
	s_waitcnt lgkmcnt(0)
	v_lshrrev_b32_e32 v39, 16, v38
	s_waitcnt vmcnt(16)
	v_mul_f16_sdwa v40, v39, v36 dst_sel:DWORD dst_unused:UNUSED_PAD src0_sel:DWORD src1_sel:WORD_1
	v_mul_f16_sdwa v41, v38, v36 dst_sel:DWORD dst_unused:UNUSED_PAD src0_sel:DWORD src1_sel:WORD_1
	v_fma_f16 v38, v38, v36, -v40
	v_fmac_f16_e32 v41, v39, v36
	v_pack_b32_f16 v36, v38, v41
	ds_write_b32 v61, v36
	v_add_nc_u32_e32 v36, 0x800, v59
	ds_read2_b32 v[38:39], v59 offset0:120 offset1:240
	ds_read2_b32 v[40:41], v121 offset0:104 offset1:224
	ds_read2_b32 v[79:80], v122 offset0:72 offset1:192
	ds_read2_b32 v[75:76], v36 offset0:88 offset1:208
	ds_read2_b32 v[98:99], v123 offset0:56 offset1:176
	ds_read2_b32 v[100:101], v124 offset0:40 offset1:160
	ds_read2_b32 v[102:103], v125 offset0:24 offset1:144
	ds_read2_b32 v[104:105], v126 offset0:8 offset1:128
	s_waitcnt lgkmcnt(7)
	v_lshrrev_b32_e32 v127, 16, v38
	s_waitcnt vmcnt(15)
	v_mul_f16_sdwa v128, v38, v81 dst_sel:DWORD dst_unused:UNUSED_PAD src0_sel:DWORD src1_sel:WORD_1
	v_lshrrev_b32_e32 v129, 16, v39
	s_waitcnt vmcnt(14)
	v_mul_f16_sdwa v130, v39, v106 dst_sel:DWORD dst_unused:UNUSED_PAD src0_sel:DWORD src1_sel:WORD_1
	s_waitcnt lgkmcnt(6)
	v_lshrrev_b32_e32 v131, 16, v40
	s_waitcnt vmcnt(13)
	v_mul_f16_sdwa v132, v40, v107 dst_sel:DWORD dst_unused:UNUSED_PAD src0_sel:DWORD src1_sel:WORD_1
	v_lshrrev_b32_e32 v133, 16, v41
	s_waitcnt vmcnt(12)
	v_mul_f16_sdwa v134, v41, v108 dst_sel:DWORD dst_unused:UNUSED_PAD src0_sel:DWORD src1_sel:WORD_1
	;; [unrolled: 7-line block ×3, first 2 shown]
	v_lshrrev_b32_e32 v139, 16, v79
	s_waitcnt vmcnt(9)
	v_mul_f16_sdwa v140, v79, v111 dst_sel:DWORD dst_unused:UNUSED_PAD src0_sel:DWORD src1_sel:WORD_1
	v_lshrrev_b32_e32 v141, 16, v80
	s_waitcnt vmcnt(8)
	v_mul_f16_sdwa v142, v80, v112 dst_sel:DWORD dst_unused:UNUSED_PAD src0_sel:DWORD src1_sel:WORD_1
	s_waitcnt lgkmcnt(3)
	v_lshrrev_b32_e32 v143, 16, v98
	s_waitcnt vmcnt(7)
	v_mul_f16_sdwa v144, v98, v113 dst_sel:DWORD dst_unused:UNUSED_PAD src0_sel:DWORD src1_sel:WORD_1
	v_lshrrev_b32_e32 v145, 16, v99
	s_waitcnt vmcnt(6)
	v_mul_f16_sdwa v146, v99, v114 dst_sel:DWORD dst_unused:UNUSED_PAD src0_sel:DWORD src1_sel:WORD_1
	s_waitcnt lgkmcnt(2)
	;; [unrolled: 7-line block ×4, first 2 shown]
	v_lshrrev_b32_e32 v155, 16, v104
	s_waitcnt vmcnt(1)
	v_mul_f16_sdwa v156, v104, v119 dst_sel:DWORD dst_unused:UNUSED_PAD src0_sel:DWORD src1_sel:WORD_1
	v_lshrrev_b32_e32 v157, 16, v105
	v_mul_f16_sdwa v159, v127, v81 dst_sel:DWORD dst_unused:UNUSED_PAD src0_sel:DWORD src1_sel:WORD_1
	v_fmac_f16_e32 v128, v127, v81
	v_mul_f16_sdwa v127, v129, v106 dst_sel:DWORD dst_unused:UNUSED_PAD src0_sel:DWORD src1_sel:WORD_1
	v_fmac_f16_e32 v130, v129, v106
	;; [unrolled: 2-line block ×9, first 2 shown]
	v_mul_f16_sdwa v143, v145, v114 dst_sel:DWORD dst_unused:UNUSED_PAD src0_sel:DWORD src1_sel:WORD_1
	s_waitcnt vmcnt(0)
	v_mul_f16_sdwa v158, v105, v120 dst_sel:DWORD dst_unused:UNUSED_PAD src0_sel:DWORD src1_sel:WORD_1
	v_fmac_f16_e32 v146, v145, v114
	v_mul_f16_sdwa v145, v147, v115 dst_sel:DWORD dst_unused:UNUSED_PAD src0_sel:DWORD src1_sel:WORD_1
	v_fmac_f16_e32 v148, v147, v115
	;; [unrolled: 2-line block ×6, first 2 shown]
	v_mul_f16_sdwa v155, v157, v120 dst_sel:DWORD dst_unused:UNUSED_PAD src0_sel:DWORD src1_sel:WORD_1
	v_fma_f16 v38, v38, v81, -v159
	v_fma_f16 v39, v39, v106, -v127
	;; [unrolled: 1-line block ×10, first 2 shown]
	v_fmac_f16_e32 v158, v157, v120
	v_fma_f16 v99, v100, v115, -v145
	v_fma_f16 v100, v101, v116, -v147
	;; [unrolled: 1-line block ×6, first 2 shown]
	v_pack_b32_f16 v38, v38, v128
	v_pack_b32_f16 v39, v39, v130
	;; [unrolled: 1-line block ×16, first 2 shown]
	ds_write2_b32 v59, v38, v39 offset0:120 offset1:240
	ds_write2_b32 v121, v40, v41 offset0:104 offset1:224
	;; [unrolled: 1-line block ×8, first 2 shown]
.LBB0_13:
	s_or_b32 exec_lo, exec_lo, s8
	s_waitcnt lgkmcnt(0)
	s_barrier
	buffer_gl0_inv
	s_and_saveexec_b32 s1, vcc_lo
	s_cbranch_execz .LBB0_15
; %bb.14:
	v_add_nc_u32_e32 v36, 0x200, v61
	v_add_nc_u32_e32 v38, 0x600, v61
	;; [unrolled: 1-line block ×3, first 2 shown]
	ds_read2_b32 v[44:45], v61 offset1:120
	ds_read2_b32 v[52:53], v36 offset0:112 offset1:232
	v_add_nc_u32_e32 v36, 0xe00, v61
	ds_read2_b32 v[46:47], v38 offset0:96 offset1:216
	v_add_nc_u32_e32 v38, 0x1200, v61
	;; [unrolled: 2-line block ×4, first 2 shown]
	ds_read2_b32 v[48:49], v38 offset0:48 offset1:168
	ds_read2_b32 v[50:51], v39 offset0:32 offset1:152
	;; [unrolled: 1-line block ×3, first 2 shown]
	ds_read_b32 v83, v61 offset:7680
	s_waitcnt lgkmcnt(8)
	v_lshrrev_b32_e32 v77, 16, v44
	v_lshrrev_b32_e32 v96, 16, v45
	s_waitcnt lgkmcnt(7)
	v_lshrrev_b32_e32 v97, 16, v52
	v_lshrrev_b32_e32 v95, 16, v53
	;; [unrolled: 3-line block ×8, first 2 shown]
	s_waitcnt lgkmcnt(0)
	v_lshrrev_b32_e32 v84, 16, v83
.LBB0_15:
	s_or_b32 exec_lo, exec_lo, s1
	v_sub_f16_e32 v185, v96, v84
	v_add_f16_e32 v130, v84, v96
	v_add_f16_e32 v183, v83, v45
	v_sub_f16_e32 v167, v97, v86
	v_sub_f16_e32 v98, v45, v83
	v_mul_f16_e32 v184, 0xb5c8, v185
	v_mul_f16_e32 v99, 0x3b76, v130
	;; [unrolled: 1-line block ×5, first 2 shown]
	v_fma_f16 v36, v183, 0x3b76, -v184
	v_add_f16_e32 v144, v86, v97
	v_add_f16_e32 v100, v43, v52
	v_mul_f16_e32 v101, 0xb964, v167
	v_fmamk_f16 v38, v98, 0xb5c8, v99
	v_fma_f16 v39, v183, 0x39e9, -v189
	v_mul_f16_e32 v191, 0xbb29, v185
	v_mul_f16_e32 v113, 0x3722, v130
	v_add_f16_e32 v36, v44, v36
	v_fmamk_f16 v40, v98, 0xb964, v104
	v_fmamk_f16 v79, v98, 0xbbf7, v119
	v_mul_f16_e32 v197, 0xbbb2, v185
	v_sub_f16_e32 v102, v52, v43
	v_mul_f16_e32 v103, 0x39e9, v144
	v_mul_f16_e32 v109, 0xbbf7, v167
	v_fma_f16 v105, v100, 0x39e9, -v101
	v_mul_f16_e32 v110, 0x2de8, v144
	v_mul_f16_e32 v129, 0xbbdd, v144
	v_add_f16_e32 v38, v77, v38
	v_add_f16_e32 v39, v44, v39
	v_mul_f16_e32 v193, 0xbbf7, v185
	v_fma_f16 v41, v183, 0x3722, -v191
	v_fmamk_f16 v75, v98, 0xbb29, v113
	v_add_f16_e32 v40, v77, v40
	v_add_f16_e32 v79, v77, v79
	v_mul_f16_e32 v138, 0xb461, v130
	v_fma_f16 v80, v183, 0xb461, -v197
	v_fmamk_f16 v106, v102, 0xb964, v103
	v_fma_f16 v107, v100, 0x2de8, -v109
	v_add_f16_e32 v36, v105, v36
	v_mul_f16_e32 v116, 0xba62, v167
	v_mul_f16_e32 v122, 0xb8d2, v144
	v_fmamk_f16 v105, v102, 0xbbf7, v110
	v_fmamk_f16 v111, v102, 0xb1e1, v129
	v_mul_f16_e32 v142, 0x3836, v167
	v_sub_f16_e32 v176, v95, v85
	v_fma_f16 v76, v183, 0x2de8, -v193
	v_add_f16_e32 v41, v44, v41
	v_add_f16_e32 v75, v77, v75
	v_fmamk_f16 v81, v98, 0xbbb2, v138
	v_add_f16_e32 v80, v44, v80
	v_add_f16_e32 v38, v106, v38
	;; [unrolled: 1-line block ×3, first 2 shown]
	v_mul_f16_e32 v127, 0xb1e1, v167
	v_fma_f16 v106, v100, 0xb8d2, -v116
	v_fmamk_f16 v107, v102, 0xba62, v122
	v_add_f16_e32 v40, v105, v40
	v_add_f16_e32 v79, v111, v79
	;; [unrolled: 1-line block ×3, first 2 shown]
	v_mul_f16_e32 v151, 0xbacd, v144
	v_add_f16_e32 v105, v42, v53
	v_fma_f16 v111, v100, 0xbacd, -v142
	v_mul_f16_e32 v117, 0xba62, v176
	v_add_f16_e32 v76, v44, v76
	v_add_f16_e32 v81, v77, v81
	v_fma_f16 v108, v100, 0xbbdd, -v127
	v_add_f16_e32 v41, v106, v41
	v_add_f16_e32 v75, v107, v75
	v_sub_f16_e32 v107, v53, v42
	v_mul_f16_e32 v106, 0xbb29, v176
	v_fmamk_f16 v112, v102, 0x3836, v151
	v_add_f16_e32 v80, v111, v80
	v_fma_f16 v111, v105, 0xb8d2, -v117
	v_mul_f16_e32 v118, 0xb8d2, v158
	v_mul_f16_e32 v125, 0x31e1, v176
	;; [unrolled: 1-line block ×3, first 2 shown]
	v_add_f16_e32 v76, v108, v76
	v_mul_f16_e32 v108, 0x3722, v158
	v_fma_f16 v114, v105, 0x3722, -v106
	v_add_f16_e32 v81, v112, v81
	v_add_f16_e32 v39, v111, v39
	v_mul_f16_e32 v132, 0xbbdd, v158
	v_fmamk_f16 v111, v107, 0xba62, v118
	v_fma_f16 v112, v105, 0xbbdd, -v125
	v_fmamk_f16 v120, v107, 0x3bb2, v141
	v_mul_f16_e32 v155, 0x3964, v176
	v_sub_f16_e32 v188, v94, v87
	v_fmamk_f16 v115, v107, 0xbb29, v108
	v_add_f16_e32 v36, v114, v36
	v_mul_f16_e32 v139, 0x3bb2, v176
	v_fmamk_f16 v114, v107, 0x31e1, v132
	v_add_f16_e32 v40, v111, v40
	v_add_f16_e32 v41, v112, v41
	;; [unrolled: 1-line block ×5, first 2 shown]
	v_mul_f16_e32 v112, 0xbbf7, v188
	v_fma_f16 v120, v105, 0x39e9, -v155
	v_mul_f16_e32 v126, 0xb1e1, v188
	v_add_f16_e32 v38, v115, v38
	v_fma_f16 v115, v105, 0xb461, -v139
	v_add_f16_e32 v75, v114, v75
	v_mul_f16_e32 v164, 0x39e9, v158
	v_sub_f16_e32 v114, v46, v51
	v_fma_f16 v123, v111, 0x2de8, -v112
	v_add_f16_e32 v80, v120, v80
	v_fma_f16 v120, v111, 0xbbdd, -v126
	v_mul_f16_e32 v128, 0xbbdd, v172
	v_mul_f16_e32 v145, 0xb461, v172
	;; [unrolled: 1-line block ×3, first 2 shown]
	v_add_f16_e32 v76, v115, v76
	v_mul_f16_e32 v115, 0x2de8, v172
	v_fmamk_f16 v121, v107, 0x3964, v164
	v_add_f16_e32 v36, v123, v36
	v_add_f16_e32 v39, v120, v39
	v_mul_f16_e32 v136, 0x3bb2, v188
	v_fmamk_f16 v120, v114, 0xb1e1, v128
	v_mul_f16_e32 v154, 0x3b76, v172
	v_fmamk_f16 v123, v114, 0x3bb2, v145
	v_mul_f16_e32 v173, 0x3722, v172
	v_add_f16_e32 v181, v89, v78
	v_fma_f16 v131, v111, 0x3722, -v170
	v_fmamk_f16 v124, v114, 0xbbf7, v115
	v_add_f16_e32 v81, v121, v81
	v_mul_f16_e32 v152, 0x35c8, v188
	v_fma_f16 v121, v111, 0xb461, -v136
	v_add_f16_e32 v40, v120, v40
	v_fmamk_f16 v120, v114, 0x35c8, v154
	v_add_f16_e32 v75, v123, v75
	v_sub_f16_e32 v199, v78, v89
	v_sub_f16_e32 v123, v47, v50
	v_add_f16_e32 v80, v131, v80
	v_fmamk_f16 v131, v114, 0xbb29, v173
	v_mul_f16_e32 v140, 0xbacd, v181
	v_add_f16_e32 v38, v124, v38
	v_fma_f16 v124, v111, 0x3b76, -v152
	v_add_f16_e32 v41, v121, v41
	v_add_f16_e32 v79, v120, v79
	;; [unrolled: 1-line block ×3, first 2 shown]
	v_mul_f16_e32 v121, 0xbbb2, v199
	v_add_f16_e32 v81, v131, v81
	v_fmamk_f16 v131, v123, 0x3836, v140
	v_mul_f16_e32 v149, 0x3964, v199
	v_add_f16_e32 v76, v124, v76
	v_mul_f16_e32 v124, 0xb461, v181
	v_fma_f16 v133, v120, 0xb461, -v121
	v_mul_f16_e32 v156, 0x39e9, v181
	v_add_f16_e32 v40, v131, v40
	v_fma_f16 v131, v120, 0x39e9, -v149
	v_mul_f16_e32 v178, 0xb1e1, v199
	v_fmamk_f16 v134, v123, 0xbbb2, v124
	v_add_f16_e32 v36, v133, v36
	v_mul_f16_e32 v165, 0xbb29, v199
	v_fmamk_f16 v133, v123, 0x3964, v156
	v_add_f16_e32 v41, v131, v41
	v_fma_f16 v131, v120, 0xbbdd, -v178
	v_sub_f16_e32 v204, v92, v93
	v_mul_f16_e32 v137, 0x3836, v199
	v_add_f16_e32 v38, v134, v38
	v_fma_f16 v134, v120, 0x3722, -v165
	v_add_f16_e32 v75, v133, v75
	v_mul_f16_e32 v186, 0xbbdd, v181
	v_add_f16_e32 v195, v93, v92
	v_add_f16_e32 v80, v131, v80
	;; [unrolled: 1-line block ×3, first 2 shown]
	v_mul_f16_e32 v131, 0xba62, v204
	v_fma_f16 v135, v120, 0xbacd, -v137
	v_mul_f16_e32 v169, 0x3722, v181
	v_add_f16_e32 v76, v134, v76
	v_sub_f16_e32 v134, v54, v49
	v_fmamk_f16 v143, v123, 0xb1e1, v186
	v_mul_f16_e32 v150, 0x3bb2, v204
	v_fma_f16 v146, v133, 0xb8d2, -v131
	v_mul_f16_e32 v153, 0xb461, v195
	v_add_f16_e32 v39, v135, v39
	v_fmamk_f16 v135, v123, 0xbb29, v169
	v_add_f16_e32 v81, v143, v81
	v_fma_f16 v143, v133, 0xb461, -v150
	v_add_f16_e32 v36, v146, v36
	v_fmamk_f16 v146, v134, 0x3bb2, v153
	v_mul_f16_e32 v163, 0xb5c8, v204
	v_mul_f16_e32 v171, 0x3b76, v195
	v_add_f16_e32 v79, v135, v79
	v_mul_f16_e32 v135, 0xb8d2, v195
	v_add_f16_e32 v39, v143, v39
	v_add_f16_e32 v40, v146, v40
	v_fma_f16 v143, v133, 0x3b76, -v163
	v_mul_f16_e32 v179, 0xbacd, v195
	v_fmamk_f16 v146, v134, 0xb5c8, v171
	v_mul_f16_e32 v190, 0x3bf7, v204
	v_fmamk_f16 v147, v134, 0xba62, v135
	v_mul_f16_e32 v175, 0xb836, v204
	v_add_f16_e32 v41, v143, v41
	v_fmamk_f16 v143, v134, 0xb836, v179
	v_add_f16_e32 v75, v146, v75
	v_fma_f16 v146, v133, 0x2de8, -v190
	v_mul_f16_e32 v196, 0x2de8, v195
	v_sub_f16_e32 v208, v91, v82
	v_add_f16_e32 v38, v147, v38
	v_fma_f16 v147, v133, 0xbacd, -v175
	v_add_f16_e32 v79, v143, v79
	v_add_f16_e32 v80, v146, v80
	;; [unrolled: 1-line block ×3, first 2 shown]
	v_fmamk_f16 v157, v134, 0x3bf7, v196
	v_add_f16_e32 v146, v48, v55
	v_mul_f16_e32 v143, 0xb836, v208
	v_add_f16_e32 v76, v147, v76
	v_sub_f16_e32 v148, v55, v48
	v_mul_f16_e32 v147, 0xbacd, v203
	v_add_f16_e32 v81, v157, v81
	v_fma_f16 v157, v146, 0xbacd, -v143
	v_mul_f16_e32 v168, 0x3722, v203
	v_mul_f16_e32 v166, 0x3b29, v208
	v_fmamk_f16 v159, v148, 0xb836, v147
	v_mul_f16_e32 v174, 0xbbf7, v208
	v_add_f16_e32 v36, v157, v36
	v_fmamk_f16 v157, v148, 0x3b29, v168
	v_mul_f16_e32 v180, 0x2de8, v203
	v_fma_f16 v160, v146, 0x3722, -v166
	v_add_f16_e32 v38, v159, v38
	v_fma_f16 v159, v146, 0x2de8, -v174
	v_add_f16_e32 v40, v157, v40
	v_mul_f16_e32 v187, 0x3a62, v208
	v_mul_f16_e32 v192, 0xb8d2, v203
	v_fmamk_f16 v157, v148, 0xbbf7, v180
	v_mul_f16_e32 v202, 0x3b76, v203
	v_add_f16_e32 v39, v160, v39
	v_add_f16_e32 v41, v159, v41
	v_mul_f16_e32 v200, 0xb5c8, v208
	v_fma_f16 v159, v146, 0xb8d2, -v187
	v_fmamk_f16 v160, v148, 0x3a62, v192
	v_add_f16_e32 v210, v157, v75
	v_fmamk_f16 v157, v148, 0xb5c8, v202
	v_sub_f16_e32 v209, v90, v88
	v_add_f16_e32 v207, v88, v90
	v_fma_f16 v75, v146, 0x3b76, -v200
	v_add_f16_e32 v76, v159, v76
	v_add_f16_e32 v211, v160, v79
	;; [unrolled: 1-line block ×4, first 2 shown]
	v_mul_f16_e32 v157, 0xb1e1, v209
	v_sub_f16_e32 v162, v56, v57
	v_mul_f16_e32 v160, 0xbbdd, v207
	v_mul_f16_e32 v177, 0x3b76, v207
	;; [unrolled: 1-line block ×3, first 2 shown]
	v_add_f16_e32 v212, v75, v80
	v_fma_f16 v75, v159, 0xbbdd, -v157
	v_fmamk_f16 v79, v162, 0xb1e1, v160
	v_fmamk_f16 v194, v162, 0x35c8, v177
	v_fma_f16 v198, v159, 0xbacd, -v182
	v_mul_f16_e32 v161, 0x35c8, v209
	v_add_f16_e32 v36, v75, v36
	v_add_f16_e32 v79, v79, v38
	v_add_f16_e32 v75, v194, v40
	v_mul_f16_e32 v194, 0xbacd, v207
	v_add_f16_e32 v38, v198, v41
	v_mul_f16_e32 v198, 0x3964, v209
	v_mul_f16_e32 v201, 0x39e9, v207
	;; [unrolled: 1-line block ×4, first 2 shown]
	v_fma_f16 v80, v159, 0x3b76, -v161
	v_fmamk_f16 v40, v162, 0xb836, v194
	v_fma_f16 v41, v159, 0x39e9, -v198
	v_fmamk_f16 v213, v162, 0x3964, v201
	;; [unrolled: 2-line block ×3, first 2 shown]
	v_add_f16_e32 v39, v80, v39
	v_add_f16_e32 v80, v40, v210
	;; [unrolled: 1-line block ×6, first 2 shown]
	s_barrier
	buffer_gl0_inv
	s_and_saveexec_b32 s1, vcc_lo
	s_cbranch_execz .LBB0_17
; %bb.16:
	v_add_f16_e32 v45, v45, v44
	v_mul_f16_e32 v214, 0x3b29, v102
	v_mul_f16_e32 v230, 0x35c8, v102
	v_add_f16_e32 v96, v96, v77
	v_add_f16_e32 v45, v52, v45
	v_mul_f16_e32 v52, 0xb1e1, v185
	v_fmamk_f16 v215, v144, 0x3722, v214
	v_fmamk_f16 v231, v144, 0x3b76, v230
	v_fma_f16 v230, v144, 0x3b76, -v230
	v_add_f16_e32 v45, v53, v45
	v_mul_f16_e32 v53, 0xb836, v185
	v_add_f16_e32 v96, v97, v96
	v_mul_f16_e32 v97, 0xb461, v133
	v_add_f16_e32 v45, v46, v45
	v_mul_f16_e32 v46, 0xb461, v183
	v_add_f16_e32 v95, v95, v96
	v_add_f16_e32 v97, v97, v150
	v_add_f16_e32 v45, v47, v45
	v_mul_f16_e32 v47, 0x2de8, v183
	v_add_f16_e32 v46, v46, v197
	v_add_f16_e32 v94, v94, v95
	v_mul_f16_e32 v95, 0xb5c8, v98
	v_add_f16_e32 v45, v54, v45
	v_mul_f16_e32 v54, 0xba62, v185
	v_add_f16_e32 v47, v47, v193
	v_add_f16_e32 v46, v44, v46
	;; [unrolled: 1-line block ×4, first 2 shown]
	v_fma_f16 v55, v183, 0xbbdd, -v52
	v_fmac_f16_e32 v52, 0xbbdd, v183
	v_add_f16_e32 v47, v44, v47
	v_sub_f16_e32 v95, v99, v95
	v_add_f16_e32 v45, v56, v45
	v_fma_f16 v56, v183, 0xbacd, -v53
	v_fmac_f16_e32 v53, 0xbacd, v183
	v_add_f16_e32 v55, v44, v55
	v_add_f16_e32 v52, v44, v52
	;; [unrolled: 1-line block ×3, first 2 shown]
	v_fma_f16 v57, v183, 0xb8d2, -v54
	v_fmac_f16_e32 v54, 0xb8d2, v183
	v_add_f16_e32 v56, v44, v56
	v_add_f16_e32 v53, v44, v53
	;; [unrolled: 1-line block ×3, first 2 shown]
	v_mul_f16_e32 v48, 0x3722, v183
	v_add_f16_e32 v57, v44, v57
	v_add_f16_e32 v54, v44, v54
	v_mul_f16_e32 v94, 0xb964, v102
	v_add_f16_e32 v45, v49, v45
	v_mul_f16_e32 v49, 0x39e9, v183
	v_mul_f16_e32 v183, 0x3b76, v183
	v_add_f16_e32 v48, v48, v191
	v_add_f16_e32 v78, v92, v78
	;; [unrolled: 1-line block ×5, first 2 shown]
	v_mul_f16_e32 v50, 0xba62, v98
	v_add_f16_e32 v48, v44, v48
	v_add_f16_e32 v45, v51, v45
	;; [unrolled: 1-line block ×4, first 2 shown]
	v_fmamk_f16 v51, v130, 0xb8d2, v50
	v_mul_f16_e32 v183, 0x3bb2, v102
	v_fma_f16 v50, v130, 0xb8d2, -v50
	v_mul_f16_e32 v92, 0x39e9, v100
	v_sub_f16_e32 v94, v103, v94
	v_add_f16_e32 v51, v77, v51
	v_fmamk_f16 v184, v144, 0xb461, v183
	v_add_f16_e32 v50, v77, v50
	v_add_f16_e32 v92, v92, v101
	;; [unrolled: 1-line block ×3, first 2 shown]
	v_mul_f16_e32 v91, 0xbb29, v107
	v_add_f16_e32 v51, v184, v51
	v_mul_f16_e32 v184, 0xb5c8, v107
	v_add_f16_e32 v44, v92, v44
	v_mul_f16_e32 v92, 0x3722, v105
	v_sub_f16_e32 v91, v108, v91
	v_add_f16_e32 v78, v90, v78
	v_fmamk_f16 v185, v158, 0x3b76, v184
	v_mul_f16_e32 v90, 0xbbf7, v114
	v_add_f16_e32 v92, v92, v106
	v_add_f16_e32 v42, v42, v45
	;; [unrolled: 1-line block ×4, first 2 shown]
	v_mul_f16_e32 v185, 0xb836, v114
	v_sub_f16_e32 v90, v115, v90
	v_mul_f16_e32 v88, 0x2de8, v111
	v_add_f16_e32 v44, v92, v44
	v_add_f16_e32 v78, v82, v78
	v_fmamk_f16 v189, v172, 0xbacd, v185
	v_mul_f16_e32 v82, 0xb461, v120
	v_add_f16_e32 v88, v88, v112
	v_add_f16_e32 v42, v43, v42
	;; [unrolled: 1-line block ×4, first 2 shown]
	v_mul_f16_e32 v189, 0x3bf7, v123
	v_add_f16_e32 v44, v88, v44
	v_mul_f16_e32 v88, 0xba62, v134
	v_add_f16_e32 v82, v82, v121
	v_add_f16_e32 v78, v89, v78
	v_fmamk_f16 v191, v181, 0x2de8, v189
	v_mul_f16_e32 v89, 0xb1e1, v162
	v_sub_f16_e32 v88, v135, v88
	v_add_f16_e32 v44, v82, v44
	v_mul_f16_e32 v82, 0xb836, v148
	v_add_f16_e32 v51, v191, v51
	v_mul_f16_e32 v191, 0xb964, v134
	;; [unrolled: 2-line block ×3, first 2 shown]
	v_sub_f16_e32 v82, v147, v82
	v_add_f16_e32 v42, v83, v42
	v_fmamk_f16 v193, v195, 0x39e9, v191
	v_add_f16_e32 v45, v85, v78
	v_add_f16_e32 v78, v87, v157
	;; [unrolled: 1-line block ×3, first 2 shown]
	v_mul_f16_e32 v193, 0xb1e1, v148
	v_add_f16_e32 v43, v86, v45
	v_fmamk_f16 v197, v203, 0xbbdd, v193
	v_add_f16_e32 v43, v84, v43
	v_add_f16_e32 v51, v197, v51
	v_mul_f16_e32 v197, 0x3bb2, v167
	v_pack_b32_f16 v42, v42, v43
	v_fma_f16 v210, v100, 0xb461, -v197
	v_fmac_f16_e32 v197, 0xb461, v100
	v_add_f16_e32 v57, v210, v57
	v_mul_f16_e32 v210, 0xb5c8, v176
	v_add_f16_e32 v54, v197, v54
	v_fma_f16 v211, v105, 0x3b76, -v210
	v_fmac_f16_e32 v210, 0x3b76, v105
	v_add_f16_e32 v57, v211, v57
	v_mul_f16_e32 v211, 0xb836, v188
	v_add_f16_e32 v54, v210, v54
	;; [unrolled: 5-line block ×3, first 2 shown]
	v_fmamk_f16 v213, v130, 0xbacd, v212
	v_add_f16_e32 v213, v77, v213
	v_add_f16_e32 v213, v215, v213
	v_mul_f16_e32 v215, 0x3bf7, v199
	v_fma_f16 v216, v120, 0x2de8, -v215
	v_fmac_f16_e32 v215, 0x2de8, v120
	v_add_f16_e32 v57, v216, v57
	v_mul_f16_e32 v216, 0xbbf7, v107
	v_add_f16_e32 v54, v215, v54
	v_fmamk_f16 v217, v158, 0x2de8, v216
	v_add_f16_e32 v213, v217, v213
	v_mul_f16_e32 v217, 0xb964, v204
	v_fma_f16 v218, v133, 0x39e9, -v217
	v_fmac_f16_e32 v217, 0x39e9, v133
	v_add_f16_e32 v57, v218, v57
	v_mul_f16_e32 v218, 0x3b29, v162
	v_add_f16_e32 v54, v217, v54
	v_fmamk_f16 v219, v207, 0x3722, v218
	v_add_f16_e32 v51, v219, v51
	v_mul_f16_e32 v219, 0x3a62, v114
	v_fmamk_f16 v220, v172, 0xb8d2, v219
	v_add_f16_e32 v213, v220, v213
	v_mul_f16_e32 v220, 0xb1e1, v208
	v_fma_f16 v221, v146, 0xbbdd, -v220
	v_fmac_f16_e32 v220, 0xbbdd, v146
	v_add_f16_e32 v57, v221, v57
	v_mul_f16_e32 v221, 0xb5c8, v123
	v_add_f16_e32 v54, v220, v54
	v_fmamk_f16 v222, v181, 0x3b76, v221
	v_add_f16_e32 v213, v222, v213
	v_mul_f16_e32 v222, 0xb1e1, v134
	;; [unrolled: 11-line block ×3, first 2 shown]
	v_mul_f16_e32 v167, 0x35c8, v167
	v_fma_f16 v226, v100, 0x3722, -v225
	v_fmac_f16_e32 v225, 0x3722, v100
	v_add_f16_e32 v56, v226, v56
	v_mul_f16_e32 v226, 0xbbf7, v176
	v_mul_f16_e32 v176, 0xb836, v176
	v_add_f16_e32 v53, v225, v53
	v_fma_f16 v227, v105, 0x2de8, -v226
	v_fmac_f16_e32 v226, 0x2de8, v105
	v_add_f16_e32 v56, v227, v56
	v_mul_f16_e32 v227, 0x3a62, v188
	v_mul_f16_e32 v188, 0x3964, v188
	v_add_f16_e32 v53, v226, v53
	v_fma_f16 v228, v111, 0xb8d2, -v227
	v_fmac_f16_e32 v227, 0xb8d2, v111
	v_add_f16_e32 v56, v228, v56
	v_mul_f16_e32 v228, 0xb1e1, v98
	v_add_f16_e32 v53, v227, v53
	v_fmamk_f16 v229, v130, 0xbbdd, v228
	v_fma_f16 v228, v130, 0xbbdd, -v228
	v_add_f16_e32 v229, v77, v229
	v_add_f16_e32 v228, v77, v228
	v_add_f16_e32 v229, v231, v229
	v_mul_f16_e32 v231, 0xb5c8, v199
	v_mul_f16_e32 v199, 0xba62, v199
	v_add_f16_e32 v228, v230, v228
	v_fma_f16 v232, v120, 0x3b76, -v231
	v_fma_f16 v230, v120, 0xb8d2, -v199
	v_fmac_f16_e32 v231, 0x3b76, v120
	v_fmac_f16_e32 v199, 0xb8d2, v120
	v_add_f16_e32 v56, v232, v56
	v_mul_f16_e32 v232, 0xb836, v107
	v_add_f16_e32 v53, v231, v53
	v_fmamk_f16 v233, v158, 0xbacd, v232
	v_add_f16_e32 v229, v233, v229
	v_mul_f16_e32 v233, 0xb1e1, v204
	v_mul_f16_e32 v204, 0x3b29, v204
	v_fma_f16 v234, v133, 0xbbdd, -v233
	v_fmac_f16_e32 v233, 0xbbdd, v133
	v_add_f16_e32 v56, v234, v56
	v_mul_f16_e32 v234, 0xbbb2, v162
	v_add_f16_e32 v53, v233, v53
	v_fmamk_f16 v235, v207, 0xb461, v234
	v_add_f16_e32 v213, v235, v213
	v_mul_f16_e32 v235, 0x3964, v114
	v_fmamk_f16 v236, v172, 0x39e9, v235
	v_add_f16_e32 v229, v236, v229
	v_mul_f16_e32 v236, 0x3964, v208
	v_mul_f16_e32 v208, 0xbbb2, v208
	v_fma_f16 v237, v146, 0x39e9, -v236
	v_fmac_f16_e32 v236, 0x39e9, v146
	v_add_f16_e32 v56, v237, v56
	v_mul_f16_e32 v237, 0xba62, v123
	v_add_f16_e32 v53, v236, v53
	v_fmamk_f16 v238, v181, 0xb8d2, v237
	v_add_f16_e32 v229, v238, v229
	v_mul_f16_e32 v238, 0x3b29, v134
	v_fmamk_f16 v239, v195, 0x3722, v238
	v_add_f16_e32 v229, v239, v229
	v_mul_f16_e32 v239, 0xbbb2, v209
	v_mul_f16_e32 v209, 0x3bf7, v209
	v_fma_f16 v240, v159, 0xb461, -v239
	v_fmac_f16_e32 v239, 0xb461, v159
	v_add_f16_e32 v56, v240, v56
	v_mul_f16_e32 v240, 0xbbb2, v148
	v_add_f16_e32 v53, v239, v53
	v_fmamk_f16 v241, v203, 0xb461, v240
	v_add_f16_e32 v229, v241, v229
	v_fma_f16 v241, v100, 0x3b76, -v167
	v_fmac_f16_e32 v167, 0x3b76, v100
	v_add_f16_e32 v55, v241, v55
	v_mul_f16_e32 v241, 0x3bf7, v162
	v_add_f16_e32 v52, v167, v52
	v_fma_f16 v167, v203, 0xb461, -v240
	v_fmamk_f16 v242, v207, 0x2de8, v241
	v_add_f16_e32 v229, v242, v229
	v_fma_f16 v242, v105, 0xbacd, -v176
	v_fmac_f16_e32 v176, 0xbacd, v105
	v_add_f16_e32 v55, v242, v55
	v_fma_f16 v242, v111, 0x39e9, -v188
	v_add_f16_e32 v52, v176, v52
	v_fmac_f16_e32 v188, 0x39e9, v111
	v_fma_f16 v176, v130, 0xbacd, -v212
	v_fma_f16 v130, v144, 0xb461, -v183
	v_add_f16_e32 v55, v242, v55
	v_add_f16_e32 v52, v188, v52
	;; [unrolled: 1-line block ×3, first 2 shown]
	v_fma_f16 v188, v144, 0x3722, -v214
	v_add_f16_e32 v55, v230, v55
	v_fma_f16 v230, v158, 0xbacd, -v232
	v_add_f16_e32 v50, v130, v50
	v_fma_f16 v130, v158, 0x3b76, -v184
	v_add_f16_e32 v176, v188, v176
	v_fma_f16 v188, v158, 0x2de8, -v216
	v_add_f16_e32 v228, v230, v228
	v_fma_f16 v230, v133, 0x3722, -v204
	v_fma_f16 v144, v195, 0xbbdd, -v222
	v_add_f16_e32 v50, v130, v50
	v_add_f16_e32 v176, v188, v176
	v_fma_f16 v188, v207, 0x2de8, -v241
	v_add_f16_e32 v55, v230, v55
	v_fma_f16 v230, v172, 0x39e9, -v235
	v_fma_f16 v130, v172, 0xbacd, -v185
	v_fma_f16 v158, v203, 0x39e9, -v224
	v_add_f16_e32 v52, v199, v52
	v_fmac_f16_e32 v204, 0x3722, v133
	v_add_f16_e32 v228, v230, v228
	v_fma_f16 v230, v146, 0xb461, -v208
	v_add_f16_e32 v50, v130, v50
	v_fma_f16 v130, v181, 0x2de8, -v189
	v_add_f16_e32 v52, v204, v52
	v_fmac_f16_e32 v208, 0xb461, v146
	v_add_f16_e32 v55, v230, v55
	v_fma_f16 v230, v181, 0xb8d2, -v237
	v_add_f16_e32 v50, v130, v50
	v_fma_f16 v130, v195, 0x39e9, -v191
	v_add_f16_e32 v52, v208, v52
	v_add_f16_e32 v228, v230, v228
	v_fma_f16 v230, v159, 0x2de8, -v209
	v_add_f16_e32 v50, v130, v50
	v_fma_f16 v130, v203, 0xbbdd, -v193
	v_fmac_f16_e32 v209, 0x2de8, v159
	v_add_f16_e32 v55, v230, v55
	v_fma_f16 v230, v195, 0x3722, -v238
	v_add_f16_e32 v50, v130, v50
	v_fma_f16 v130, v207, 0x3722, -v218
	v_add_f16_e32 v228, v230, v228
	v_add_f16_e32 v50, v130, v50
	;; [unrolled: 1-line block ×4, first 2 shown]
	v_fma_f16 v188, v172, 0xb8d2, -v219
	v_add_f16_e32 v176, v188, v176
	v_fma_f16 v188, v181, 0x3b76, -v221
	v_add_f16_e32 v176, v188, v176
	v_add_f16_e32 v144, v144, v176
	;; [unrolled: 1-line block ×3, first 2 shown]
	v_fma_f16 v158, v207, 0xb461, -v234
	v_add_f16_e32 v144, v158, v144
	v_mul_f16_e32 v158, 0xbbb2, v98
	v_sub_f16_e32 v138, v138, v158
	v_mul_f16_e32 v158, 0x3836, v102
	v_add_f16_e32 v130, v77, v138
	v_sub_f16_e32 v151, v151, v158
	v_mul_f16_e32 v138, 0x3964, v107
	v_add_f16_e32 v130, v151, v130
	v_mul_f16_e32 v151, 0xbacd, v100
	v_sub_f16_e32 v138, v164, v138
	v_add_f16_e32 v142, v151, v142
	v_mul_f16_e32 v151, 0xbbf7, v98
	v_add_f16_e32 v130, v138, v130
	v_mul_f16_e32 v138, 0xbb29, v114
	v_add_f16_e32 v46, v142, v46
	v_sub_f16_e32 v119, v119, v151
	v_mul_f16_e32 v151, 0xb1e1, v102
	v_sub_f16_e32 v138, v173, v138
	v_mul_f16_e32 v142, 0x39e9, v105
	v_add_f16_e32 v119, v77, v119
	v_sub_f16_e32 v129, v129, v151
	v_add_f16_e32 v130, v138, v130
	v_add_f16_e32 v142, v142, v155
	v_mul_f16_e32 v138, 0xb1e1, v123
	v_add_f16_e32 v119, v129, v119
	v_mul_f16_e32 v129, 0x3bb2, v107
	v_add_f16_e32 v46, v142, v46
	v_sub_f16_e32 v138, v186, v138
	v_mul_f16_e32 v142, 0x3722, v111
	v_sub_f16_e32 v129, v141, v129
	v_mul_f16_e32 v141, 0xbbdd, v100
	v_add_f16_e32 v130, v138, v130
	v_add_f16_e32 v142, v142, v170
	v_mul_f16_e32 v138, 0x3bf7, v134
	v_add_f16_e32 v119, v129, v119
	v_mul_f16_e32 v129, 0x35c8, v114
	v_add_f16_e32 v127, v141, v127
	v_add_f16_e32 v46, v142, v46
	v_sub_f16_e32 v138, v196, v138
	v_mul_f16_e32 v142, 0xbbdd, v120
	v_sub_f16_e32 v129, v154, v129
	v_add_f16_e32 v47, v127, v47
	v_mul_f16_e32 v127, 0xb461, v105
	v_add_f16_e32 v130, v138, v130
	v_add_f16_e32 v142, v142, v178
	;; [unrolled: 1-line block ×3, first 2 shown]
	v_mul_f16_e32 v129, 0xbb29, v123
	v_mul_f16_e32 v138, 0xb5c8, v148
	v_add_f16_e32 v127, v127, v139
	v_add_f16_e32 v46, v142, v46
	v_mul_f16_e32 v142, 0x2de8, v133
	v_sub_f16_e32 v129, v169, v129
	v_sub_f16_e32 v138, v202, v138
	v_add_f16_e32 v47, v127, v47
	v_mul_f16_e32 v127, 0x3b76, v111
	v_add_f16_e32 v142, v142, v190
	v_add_f16_e32 v119, v129, v119
	v_mul_f16_e32 v129, 0xb836, v134
	v_add_f16_e32 v130, v138, v130
	v_mul_f16_e32 v138, 0xba62, v162
	;; [unrolled: 2-line block ×3, first 2 shown]
	v_sub_f16_e32 v129, v179, v129
	v_add_f16_e32 v127, v127, v152
	v_sub_f16_e32 v138, v206, v138
	v_add_f16_e32 v142, v142, v200
	v_add_f16_e32 v119, v129, v119
	v_mul_f16_e32 v129, 0x3a62, v148
	v_add_f16_e32 v130, v138, v130
	v_mul_f16_e32 v138, 0xb8d2, v159
	v_add_f16_e32 v46, v142, v46
	v_add_f16_e32 v47, v127, v47
	v_sub_f16_e32 v129, v192, v129
	v_mul_f16_e32 v127, 0x3722, v120
	v_add_f16_e32 v138, v138, v205
	v_add_f16_e32 v119, v129, v119
	v_mul_f16_e32 v129, 0x3964, v162
	v_add_f16_e32 v46, v138, v46
	v_mul_f16_e32 v138, 0xbb29, v98
	v_add_f16_e32 v127, v127, v165
	v_sub_f16_e32 v129, v201, v129
	v_pack_b32_f16 v46, v46, v130
	v_sub_f16_e32 v113, v113, v138
	v_mul_f16_e32 v138, 0xba62, v102
	v_add_f16_e32 v47, v127, v47
	v_add_f16_e32 v119, v129, v119
	v_mul_f16_e32 v129, 0xb8d2, v100
	v_add_f16_e32 v113, v77, v113
	v_sub_f16_e32 v122, v122, v138
	v_mul_f16_e32 v127, 0xbacd, v133
	v_add_f16_e32 v116, v129, v116
	v_add_f16_e32 v113, v122, v113
	v_mul_f16_e32 v122, 0x31e1, v107
	v_add_f16_e32 v127, v127, v175
	v_add_f16_e32 v48, v116, v48
	v_mul_f16_e32 v116, 0xbbdd, v105
	v_sub_f16_e32 v122, v132, v122
	v_add_f16_e32 v47, v127, v47
	v_mul_f16_e32 v127, 0xb8d2, v146
	v_add_f16_e32 v116, v116, v125
	v_mul_f16_e32 v125, 0xb964, v98
	;; [unrolled: 2-line block ×3, first 2 shown]
	v_add_f16_e32 v127, v127, v187
	v_add_f16_e32 v48, v116, v48
	v_sub_f16_e32 v104, v104, v125
	v_mul_f16_e32 v125, 0xbbf7, v102
	v_mul_f16_e32 v116, 0xb461, v111
	v_sub_f16_e32 v122, v145, v122
	v_mul_f16_e32 v98, 0x35c8, v162
	v_add_f16_e32 v104, v77, v104
	v_sub_f16_e32 v110, v110, v125
	v_add_f16_e32 v77, v77, v95
	v_add_f16_e32 v116, v116, v136
	;; [unrolled: 1-line block ×3, first 2 shown]
	v_mul_f16_e32 v122, 0x3964, v123
	v_add_f16_e32 v104, v110, v104
	v_mul_f16_e32 v110, 0xba62, v107
	v_add_f16_e32 v77, v94, v77
	v_add_f16_e32 v48, v116, v48
	v_mul_f16_e32 v116, 0x39e9, v120
	v_sub_f16_e32 v122, v156, v122
	v_sub_f16_e32 v110, v118, v110
	v_mul_f16_e32 v118, 0x2de8, v100
	v_add_f16_e32 v77, v91, v77
	v_add_f16_e32 v116, v116, v149
	;; [unrolled: 1-line block ×5, first 2 shown]
	v_mul_f16_e32 v110, 0xb1e1, v114
	v_add_f16_e32 v77, v90, v77
	v_mul_f16_e32 v90, 0xbbb2, v123
	v_mul_f16_e32 v122, 0xb5c8, v134
	v_add_f16_e32 v49, v109, v49
	v_mul_f16_e32 v109, 0xb8d2, v105
	v_sub_f16_e32 v110, v128, v110
	v_add_f16_e32 v48, v116, v48
	v_mul_f16_e32 v116, 0x3b76, v133
	v_sub_f16_e32 v90, v124, v90
	v_add_f16_e32 v109, v109, v117
	v_add_f16_e32 v104, v110, v104
	v_mul_f16_e32 v110, 0x3836, v123
	v_sub_f16_e32 v122, v171, v122
	v_add_f16_e32 v116, v116, v163
	;; [unrolled: 4-line block ×3, first 2 shown]
	v_mul_f16_e32 v90, 0xb8d2, v133
	v_add_f16_e32 v113, v122, v113
	v_add_f16_e32 v109, v109, v126
	;; [unrolled: 1-line block ×3, first 2 shown]
	v_mul_f16_e32 v110, 0x3bb2, v134
	v_mul_f16_e32 v122, 0xbbf7, v148
	v_add_f16_e32 v48, v116, v48
	v_add_f16_e32 v49, v109, v49
	v_mul_f16_e32 v109, 0xbacd, v120
	v_sub_f16_e32 v110, v153, v110
	v_mul_f16_e32 v116, 0x2de8, v146
	v_add_f16_e32 v90, v90, v131
	v_add_f16_e32 v77, v88, v77
	;; [unrolled: 1-line block ×4, first 2 shown]
	v_mul_f16_e32 v110, 0x3b29, v148
	v_mul_f16_e32 v88, 0xbacd, v146
	v_sub_f16_e32 v122, v180, v122
	v_add_f16_e32 v49, v109, v49
	v_add_f16_e32 v116, v116, v174
	v_sub_f16_e32 v110, v168, v110
	v_add_f16_e32 v44, v90, v44
	v_mul_f16_e32 v90, 0x3b76, v159
	v_add_f16_e32 v49, v97, v49
	v_mul_f16_e32 v97, 0x3722, v146
	v_add_f16_e32 v88, v88, v143
	v_add_f16_e32 v113, v122, v113
	v_mul_f16_e32 v122, 0xb836, v162
	v_add_f16_e32 v48, v116, v48
	;; [unrolled: 3-line block ×3, first 2 shown]
	v_mul_f16_e32 v127, 0x39e9, v159
	v_add_f16_e32 v96, v110, v104
	v_sub_f16_e32 v98, v177, v98
	v_add_f16_e32 v49, v97, v49
	v_add_f16_e32 v77, v82, v77
	v_sub_f16_e32 v82, v160, v89
	v_add_f16_e32 v44, v88, v44
	;; [unrolled: 3-line block ×3, first 2 shown]
	v_add_f16_e32 v127, v127, v198
	v_add_f16_e32 v45, v82, v77
	;; [unrolled: 1-line block ×3, first 2 shown]
	v_mov_b32_e32 v77, 2
	v_add_f16_e32 v78, v98, v96
	v_add_f16_e32 v49, v85, v49
	;; [unrolled: 1-line block ×5, first 2 shown]
	v_lshlrev_b32_sdwa v62, v77, v62 dst_sel:DWORD dst_unused:UNUSED_PAD src0_sel:DWORD src1_sel:WORD_0
	v_pack_b32_f16 v44, v44, v45
	v_pack_b32_f16 v45, v49, v78
	;; [unrolled: 1-line block ×3, first 2 shown]
	v_add_f16_e32 v50, v209, v52
	v_pack_b32_f16 v43, v48, v109
	v_pack_b32_f16 v47, v47, v119
	;; [unrolled: 1-line block ×3, first 2 shown]
	ds_write2_b32 v62, v42, v44 offset1:1
	ds_write2_b32 v62, v45, v43 offset0:2 offset1:3
	ds_write2_b32 v62, v47, v46 offset0:4 offset1:5
	;; [unrolled: 1-line block ×3, first 2 shown]
	v_pack_b32_f16 v42, v55, v229
	v_pack_b32_f16 v43, v50, v167
	;; [unrolled: 1-line block ×4, first 2 shown]
	v_perm_b32 v46, v76, v41, 0x5040100
	v_perm_b32 v47, v81, v40, 0x5040100
	;; [unrolled: 1-line block ×5, first 2 shown]
	ds_write2_b32 v62, v43, v42 offset0:8 offset1:9
	ds_write2_b32 v62, v45, v44 offset0:10 offset1:11
	;; [unrolled: 1-line block ×4, first 2 shown]
	ds_write_b32 v62, v50 offset:64
.LBB0_17:
	s_or_b32 exec_lo, exec_lo, s1
	v_add_nc_u32_e32 v42, 0x400, v61
	v_add_nc_u32_e32 v43, 0xf00, v61
	;; [unrolled: 1-line block ×3, first 2 shown]
	s_waitcnt lgkmcnt(0)
	s_barrier
	buffer_gl0_inv
	v_add_nc_u32_e32 v57, 0xa00, v61
	ds_read2_b32 v[46:47], v42 offset0:84 offset1:254
	v_add_nc_u32_e32 v62, 0x1a00, v61
	ds_read2_b32 v[44:45], v61 offset1:170
	ds_read2_b32 v[48:49], v43 offset0:60 offset1:230
	ds_read2_b32 v[50:51], v56 offset0:80 offset1:250
	;; [unrolled: 1-line block ×4, first 2 shown]
	s_waitcnt lgkmcnt(0)
	s_barrier
	buffer_gl0_inv
	v_lshrrev_b32_e32 v83, 16, v48
	v_lshrrev_b32_e32 v82, 16, v47
	;; [unrolled: 1-line block ×5, first 2 shown]
	v_mul_f16_sdwa v93, v23, v48 dst_sel:DWORD dst_unused:UNUSED_PAD src0_sel:WORD_1 src1_sel:DWORD
	v_mul_f16_sdwa v95, v22, v82 dst_sel:DWORD dst_unused:UNUSED_PAD src0_sel:WORD_1 src1_sel:DWORD
	;; [unrolled: 1-line block ×6, first 2 shown]
	v_lshrrev_b32_e32 v87, 16, v54
	v_lshrrev_b32_e32 v89, 16, v53
	;; [unrolled: 1-line block ×3, first 2 shown]
	v_fma_f16 v83, v23, v83, -v93
	v_fmac_f16_e32 v95, v22, v47
	v_fmac_f16_e32 v96, v23, v48
	v_mul_f16_sdwa v23, v19, v85 dst_sel:DWORD dst_unused:UNUSED_PAD src0_sel:WORD_1 src1_sel:DWORD
	v_mul_f16_sdwa v47, v20, v86 dst_sel:DWORD dst_unused:UNUSED_PAD src0_sel:WORD_1 src1_sel:DWORD
	;; [unrolled: 1-line block ×3, first 2 shown]
	v_fma_f16 v82, v22, v82, -v92
	v_fmac_f16_e32 v97, v24, v51
	v_fma_f16 v22, v24, v84, -v94
	v_mul_f16_sdwa v24, v19, v52 dst_sel:DWORD dst_unused:UNUSED_PAD src0_sel:WORD_1 src1_sel:DWORD
	v_lshrrev_b32_e32 v77, 16, v44
	v_lshrrev_b32_e32 v91, 16, v55
	v_mul_f16_sdwa v51, v21, v87 dst_sel:DWORD dst_unused:UNUSED_PAD src0_sel:WORD_1 src1_sel:DWORD
	v_fmac_f16_e32 v23, v19, v52
	v_fmac_f16_e32 v47, v20, v49
	v_fma_f16 v20, v20, v86, -v48
	v_mul_f16_sdwa v48, v16, v89 dst_sel:DWORD dst_unused:UNUSED_PAD src0_sel:WORD_1 src1_sel:DWORD
	v_mul_f16_sdwa v52, v17, v90 dst_sel:DWORD dst_unused:UNUSED_PAD src0_sel:WORD_1 src1_sel:DWORD
	v_fma_f16 v19, v19, v85, -v24
	v_mul_f16_sdwa v24, v21, v54 dst_sel:DWORD dst_unused:UNUSED_PAD src0_sel:WORD_1 src1_sel:DWORD
	v_mul_f16_sdwa v49, v16, v53 dst_sel:DWORD dst_unused:UNUSED_PAD src0_sel:WORD_1 src1_sel:DWORD
	v_fmac_f16_e32 v51, v21, v54
	v_mul_f16_sdwa v54, v17, v50 dst_sel:DWORD dst_unused:UNUSED_PAD src0_sel:WORD_1 src1_sel:DWORD
	v_fmac_f16_e32 v48, v16, v53
	v_fmac_f16_e32 v52, v17, v50
	v_mul_f16_sdwa v50, v18, v91 dst_sel:DWORD dst_unused:UNUSED_PAD src0_sel:WORD_1 src1_sel:DWORD
	v_sub_f16_e32 v53, v77, v83
	v_mul_f16_sdwa v83, v18, v55 dst_sel:DWORD dst_unused:UNUSED_PAD src0_sel:WORD_1 src1_sel:DWORD
	v_fma_f16 v21, v21, v87, -v24
	v_fma_f16 v16, v16, v89, -v49
	v_sub_f16_e32 v24, v44, v96
	v_sub_f16_e32 v49, v95, v97
	;; [unrolled: 1-line block ×3, first 2 shown]
	v_lshrrev_b32_e32 v78, 16, v45
	v_lshrrev_b32_e32 v88, 16, v46
	v_fma_f16 v17, v17, v90, -v54
	v_fmac_f16_e32 v50, v18, v55
	v_fma_f16 v18, v18, v91, -v83
	v_fma_f16 v44, v44, 2.0, -v24
	v_fma_f16 v54, v95, 2.0, -v49
	;; [unrolled: 1-line block ×4, first 2 shown]
	v_sub_f16_e32 v47, v45, v47
	v_sub_f16_e32 v51, v23, v51
	;; [unrolled: 1-line block ×10, first 2 shown]
	v_add_f16_e32 v22, v24, v22
	v_sub_f16_e32 v49, v53, v49
	v_fma_f16 v45, v45, 2.0, -v47
	v_fma_f16 v23, v23, 2.0, -v51
	;; [unrolled: 1-line block ×12, first 2 shown]
	v_sub_f16_e32 v23, v45, v23
	v_sub_f16_e32 v19, v78, v19
	v_add_f16_e32 v21, v47, v21
	v_sub_f16_e32 v51, v20, v51
	v_sub_f16_e32 v48, v46, v48
	;; [unrolled: 1-line block ×3, first 2 shown]
	v_add_f16_e32 v18, v52, v18
	v_sub_f16_e32 v50, v17, v50
	v_pack_b32_f16 v44, v44, v77
	v_pack_b32_f16 v24, v24, v53
	v_fma_f16 v45, v45, 2.0, -v23
	v_fma_f16 v78, v78, 2.0, -v19
	;; [unrolled: 1-line block ×8, first 2 shown]
	ds_write2_b32 v66, v44, v24 offset1:17
	v_pack_b32_f16 v24, v54, v55
	v_pack_b32_f16 v22, v22, v49
	;; [unrolled: 1-line block ×10, first 2 shown]
	ds_write2_b32 v66, v24, v22 offset0:34 offset1:51
	ds_write2_b32 v65, v44, v20 offset1:17
	ds_write2_b32 v65, v19, v21 offset0:34 offset1:51
	ds_write2_b32 v64, v23, v17 offset1:17
	ds_write2_b32 v64, v16, v18 offset0:34 offset1:51
	s_waitcnt lgkmcnt(0)
	s_barrier
	buffer_gl0_inv
	ds_read2_b32 v[18:19], v61 offset1:170
	ds_read2_b32 v[20:21], v57 offset0:40 offset1:210
	ds_read2_b32 v[22:23], v56 offset0:80 offset1:250
	;; [unrolled: 1-line block ×5, first 2 shown]
	s_waitcnt lgkmcnt(0)
	s_barrier
	buffer_gl0_inv
	v_lshrrev_b32_e32 v42, 16, v18
	v_lshrrev_b32_e32 v48, 16, v20
	;; [unrolled: 1-line block ×5, first 2 shown]
	v_mul_f16_sdwa v62, v32, v20 dst_sel:DWORD dst_unused:UNUSED_PAD src0_sel:WORD_1 src1_sel:DWORD
	v_mul_f16_sdwa v56, v32, v48 dst_sel:DWORD dst_unused:UNUSED_PAD src0_sel:WORD_1 src1_sel:DWORD
	;; [unrolled: 1-line block ×3, first 2 shown]
	v_lshrrev_b32_e32 v54, 16, v44
	v_lshrrev_b32_e32 v55, 16, v46
	;; [unrolled: 1-line block ×3, first 2 shown]
	v_fmac_f16_e32 v56, v32, v20
	v_mul_f16_sdwa v20, v33, v22 dst_sel:DWORD dst_unused:UNUSED_PAD src0_sel:WORD_1 src1_sel:DWORD
	v_fma_f16 v32, v32, v48, -v62
	v_mul_f16_sdwa v48, v30, v51 dst_sel:DWORD dst_unused:UNUSED_PAD src0_sel:WORD_1 src1_sel:DWORD
	v_fmac_f16_e32 v65, v33, v22
	v_mul_f16_sdwa v22, v30, v21 dst_sel:DWORD dst_unused:UNUSED_PAD src0_sel:WORD_1 src1_sel:DWORD
	v_fma_f16 v20, v33, v49, -v20
	v_mul_f16_sdwa v33, v31, v52 dst_sel:DWORD dst_unused:UNUSED_PAD src0_sel:WORD_1 src1_sel:DWORD
	v_fmac_f16_e32 v48, v30, v21
	v_mul_f16_sdwa v21, v31, v23 dst_sel:DWORD dst_unused:UNUSED_PAD src0_sel:WORD_1 src1_sel:DWORD
	v_fma_f16 v22, v30, v51, -v22
	v_mul_f16_sdwa v30, v28, v54 dst_sel:DWORD dst_unused:UNUSED_PAD src0_sel:WORD_1 src1_sel:DWORD
	v_fmac_f16_e32 v33, v31, v23
	v_mul_f16_sdwa v23, v28, v44 dst_sel:DWORD dst_unused:UNUSED_PAD src0_sel:WORD_1 src1_sel:DWORD
	v_lshrrev_b32_e32 v64, 16, v47
	v_fma_f16 v21, v31, v52, -v21
	v_mul_f16_sdwa v31, v29, v55 dst_sel:DWORD dst_unused:UNUSED_PAD src0_sel:WORD_1 src1_sel:DWORD
	v_fmac_f16_e32 v30, v28, v44
	v_mul_f16_sdwa v44, v29, v46 dst_sel:DWORD dst_unused:UNUSED_PAD src0_sel:WORD_1 src1_sel:DWORD
	v_fma_f16 v23, v28, v54, -v23
	v_mul_f16_sdwa v28, v26, v57 dst_sel:DWORD dst_unused:UNUSED_PAD src0_sel:WORD_1 src1_sel:DWORD
	v_fmac_f16_e32 v31, v29, v46
	v_mul_f16_sdwa v46, v26, v45 dst_sel:DWORD dst_unused:UNUSED_PAD src0_sel:WORD_1 src1_sel:DWORD
	;; [unrolled: 4-line block ×3, first 2 shown]
	v_fma_f16 v26, v26, v57, -v46
	v_add_f16_e32 v46, v56, v65
	v_fmac_f16_e32 v44, v27, v47
	v_add_f16_e32 v47, v18, v56
	v_fma_f16 v27, v27, v64, -v45
	v_add_f16_e32 v45, v32, v20
	v_fma_f16 v18, -0.5, v46, v18
	v_sub_f16_e32 v46, v32, v20
	v_add_f16_e32 v32, v42, v32
	v_lshrrev_b32_e32 v50, 16, v19
	v_fmac_f16_e32 v42, -0.5, v45
	v_sub_f16_e32 v45, v56, v65
	v_fmamk_f16 v49, v46, 0xbaee, v18
	v_fmac_f16_e32 v18, 0x3aee, v46
	v_add_f16_e32 v20, v32, v20
	v_add_f16_e32 v32, v48, v33
	v_fmamk_f16 v46, v45, 0x3aee, v42
	v_add_f16_e32 v51, v19, v48
	v_fmac_f16_e32 v42, 0xbaee, v45
	v_add_f16_e32 v45, v22, v21
	v_fmac_f16_e32 v19, -0.5, v32
	v_sub_f16_e32 v32, v22, v21
	v_add_f16_e32 v51, v51, v33
	v_add_f16_e32 v22, v50, v22
	v_fmac_f16_e32 v50, -0.5, v45
	v_sub_f16_e32 v33, v48, v33
	v_lshrrev_b32_e32 v53, 16, v16
	v_fmamk_f16 v45, v32, 0xbaee, v19
	v_fmac_f16_e32 v19, 0x3aee, v32
	v_add_f16_e32 v21, v22, v21
	v_add_f16_e32 v22, v30, v31
	v_fmamk_f16 v32, v33, 0x3aee, v50
	v_fmac_f16_e32 v50, 0xbaee, v33
	v_add_f16_e32 v33, v23, v29
	v_add_f16_e32 v48, v16, v30
	v_fma_f16 v22, -0.5, v22, v16
	v_sub_f16_e32 v16, v23, v29
	v_add_f16_e32 v23, v53, v23
	v_fmac_f16_e32 v53, -0.5, v33
	v_sub_f16_e32 v30, v30, v31
	v_lshrrev_b32_e32 v24, 16, v17
	v_add_f16_e32 v48, v48, v31
	v_add_f16_e32 v23, v23, v29
	v_fmamk_f16 v31, v16, 0xbaee, v22
	v_fmamk_f16 v29, v30, 0x3aee, v53
	v_fmac_f16_e32 v53, 0xbaee, v30
	v_add_f16_e32 v30, v26, v27
	v_fmac_f16_e32 v22, 0x3aee, v16
	v_add_f16_e32 v16, v28, v44
	v_add_f16_e32 v47, v47, v65
	v_sub_f16_e32 v52, v26, v27
	v_add_f16_e32 v26, v24, v26
	v_add_f16_e32 v33, v17, v28
	v_fmac_f16_e32 v24, -0.5, v30
	v_sub_f16_e32 v28, v28, v44
	v_fmac_f16_e32 v17, -0.5, v16
	v_add_f16_e32 v26, v26, v27
	v_pack_b32_f16 v20, v47, v20
	v_pack_b32_f16 v27, v49, v46
	;; [unrolled: 1-line block ×3, first 2 shown]
	v_fmamk_f16 v30, v28, 0x3aee, v24
	v_fmac_f16_e32 v24, 0xbaee, v28
	v_pack_b32_f16 v21, v51, v21
	v_pack_b32_f16 v28, v45, v32
	v_add_f16_e32 v33, v33, v44
	v_fmamk_f16 v16, v52, 0xbaee, v17
	v_fmac_f16_e32 v17, 0x3aee, v52
	ds_write2_b32 v70, v20, v27 offset1:68
	ds_write_b32 v70, v18 offset:544
	ds_write2_b32 v69, v21, v28 offset1:68
	v_pack_b32_f16 v18, v19, v50
	v_pack_b32_f16 v19, v48, v23
	;; [unrolled: 1-line block ×3, first 2 shown]
	v_add_nc_u32_e32 v31, 0x600, v61
	v_pack_b32_f16 v21, v22, v53
	v_add_nc_u32_e32 v32, 0xc00, v61
	v_pack_b32_f16 v22, v33, v26
	v_pack_b32_f16 v23, v16, v30
	v_add_nc_u32_e32 v33, 0x1300, v61
	v_pack_b32_f16 v26, v17, v24
	v_add_nc_u32_e32 v42, 0x1900, v61
	ds_write_b32 v69, v18 offset:544
	ds_write2_b32 v68, v19, v20 offset1:68
	ds_write_b32 v68, v21 offset:544
	ds_write2_b32 v67, v22, v23 offset1:68
	ds_write_b32 v67, v26 offset:544
	s_waitcnt lgkmcnt(0)
	s_barrier
	buffer_gl0_inv
	ds_read2_b32 v[18:19], v61 offset1:204
	ds_read2_b32 v[28:29], v31 offset0:24 offset1:228
	ds_read2_b32 v[26:27], v32 offset0:48 offset1:252
	ds_read2_b32 v[22:23], v33 offset0:8 offset1:212
	ds_read2_b32 v[20:21], v42 offset0:32 offset1:236
	s_and_saveexec_b32 s1, s0
	s_cbranch_execz .LBB0_19
; %bb.18:
	v_add_nc_u32_e32 v16, 0x200, v61
	v_add_nc_u32_e32 v24, 0x900, v61
	;; [unrolled: 1-line block ×4, first 2 shown]
	ds_read2_b32 v[38:39], v43 offset0:26 offset1:230
	ds_read2_b32 v[16:17], v16 offset0:42 offset1:246
	;; [unrolled: 1-line block ×5, first 2 shown]
	s_waitcnt lgkmcnt(4)
	v_lshrrev_b32_e32 v80, 16, v38
	v_lshrrev_b32_e32 v75, 16, v39
	s_waitcnt lgkmcnt(3)
	v_lshrrev_b32_e32 v30, 16, v16
	v_lshrrev_b32_e32 v24, 16, v17
	;; [unrolled: 3-line block ×5, first 2 shown]
.LBB0_19:
	s_or_b32 exec_lo, exec_lo, s1
	s_waitcnt lgkmcnt(4)
	v_lshrrev_b32_e32 v44, 16, v19
	s_waitcnt lgkmcnt(3)
	v_lshrrev_b32_e32 v45, 16, v28
	v_lshrrev_b32_e32 v46, 16, v29
	s_waitcnt lgkmcnt(2)
	v_lshrrev_b32_e32 v47, 16, v26
	v_lshrrev_b32_e32 v48, 16, v27
	v_mul_f16_sdwa v51, v12, v44 dst_sel:DWORD dst_unused:UNUSED_PAD src0_sel:WORD_1 src1_sel:DWORD
	v_mul_f16_sdwa v54, v13, v45 dst_sel:DWORD dst_unused:UNUSED_PAD src0_sel:WORD_1 src1_sel:DWORD
	v_mul_f16_sdwa v53, v12, v19 dst_sel:DWORD dst_unused:UNUSED_PAD src0_sel:WORD_1 src1_sel:DWORD
	s_waitcnt lgkmcnt(1)
	v_lshrrev_b32_e32 v49, 16, v22
	v_lshrrev_b32_e32 v50, 16, v23
	v_fmac_f16_e32 v51, v12, v19
	v_mul_f16_sdwa v19, v13, v28 dst_sel:DWORD dst_unused:UNUSED_PAD src0_sel:WORD_1 src1_sel:DWORD
	v_fmac_f16_e32 v54, v13, v28
	v_mul_f16_sdwa v28, v14, v46 dst_sel:DWORD dst_unused:UNUSED_PAD src0_sel:WORD_1 src1_sel:DWORD
	v_fma_f16 v12, v12, v44, -v53
	v_mul_f16_sdwa v44, v14, v29 dst_sel:DWORD dst_unused:UNUSED_PAD src0_sel:WORD_1 src1_sel:DWORD
	v_fma_f16 v13, v13, v45, -v19
	v_mul_f16_sdwa v19, v15, v47 dst_sel:DWORD dst_unused:UNUSED_PAD src0_sel:WORD_1 src1_sel:DWORD
	v_fmac_f16_e32 v28, v14, v29
	v_mul_f16_sdwa v29, v8, v48 dst_sel:DWORD dst_unused:UNUSED_PAD src0_sel:WORD_1 src1_sel:DWORD
	s_waitcnt lgkmcnt(0)
	v_lshrrev_b32_e32 v52, 16, v20
	v_mul_f16_sdwa v45, v15, v26 dst_sel:DWORD dst_unused:UNUSED_PAD src0_sel:WORD_1 src1_sel:DWORD
	v_fma_f16 v14, v14, v46, -v44
	v_fmac_f16_e32 v19, v15, v26
	v_mul_f16_sdwa v26, v8, v27 dst_sel:DWORD dst_unused:UNUSED_PAD src0_sel:WORD_1 src1_sel:DWORD
	v_mul_f16_sdwa v44, v9, v49 dst_sel:DWORD dst_unused:UNUSED_PAD src0_sel:WORD_1 src1_sel:DWORD
	v_fmac_f16_e32 v29, v8, v27
	v_mul_f16_sdwa v27, v9, v22 dst_sel:DWORD dst_unused:UNUSED_PAD src0_sel:WORD_1 src1_sel:DWORD
	v_fma_f16 v15, v15, v47, -v45
	v_mul_f16_sdwa v45, v10, v50 dst_sel:DWORD dst_unused:UNUSED_PAD src0_sel:WORD_1 src1_sel:DWORD
	v_fmac_f16_e32 v44, v9, v22
	v_mul_f16_sdwa v22, v11, v20 dst_sel:DWORD dst_unused:UNUSED_PAD src0_sel:WORD_1 src1_sel:DWORD
	v_fma_f16 v9, v9, v49, -v27
	v_mul_f16_sdwa v27, v11, v52 dst_sel:DWORD dst_unused:UNUSED_PAD src0_sel:WORD_1 src1_sel:DWORD
	v_fmac_f16_e32 v45, v10, v23
	v_mul_f16_sdwa v23, v10, v23 dst_sel:DWORD dst_unused:UNUSED_PAD src0_sel:WORD_1 src1_sel:DWORD
	v_lshrrev_b32_e32 v55, 16, v21
	v_fma_f16 v8, v8, v48, -v26
	v_fmac_f16_e32 v27, v11, v20
	v_add_f16_e32 v26, v19, v44
	v_fma_f16 v22, v11, v52, -v22
	v_add_f16_e32 v47, v18, v54
	v_fma_f16 v10, v10, v50, -v23
	v_add_f16_e32 v50, v54, v27
	v_lshrrev_b32_e32 v43, 16, v18
	v_mul_f16_sdwa v46, v71, v55 dst_sel:DWORD dst_unused:UNUSED_PAD src0_sel:WORD_1 src1_sel:DWORD
	v_fma_f16 v26, -0.5, v26, v18
	v_sub_f16_e32 v48, v13, v22
	v_add_f16_e32 v11, v47, v19
	v_sub_f16_e32 v23, v15, v9
	v_sub_f16_e32 v47, v54, v19
	;; [unrolled: 1-line block ×3, first 2 shown]
	v_fmac_f16_e32 v18, -0.5, v50
	v_fmac_f16_e32 v46, v71, v21
	v_fmamk_f16 v20, v48, 0xbb9c, v26
	v_mul_f16_sdwa v21, v71, v21 dst_sel:DWORD dst_unused:UNUSED_PAD src0_sel:WORD_1 src1_sel:DWORD
	v_add_f16_e32 v47, v47, v49
	v_fmac_f16_e32 v26, 0x3b9c, v48
	v_fmamk_f16 v49, v23, 0x3b9c, v18
	v_add_f16_e32 v53, v43, v13
	v_fmac_f16_e32 v18, 0xbb9c, v23
	v_add_f16_e32 v11, v11, v44
	v_fmac_f16_e32 v20, 0xb8b4, v23
	v_fma_f16 v21, v71, v55, -v21
	v_sub_f16_e32 v50, v19, v54
	v_sub_f16_e32 v52, v44, v27
	v_fmac_f16_e32 v26, 0x38b4, v23
	v_add_f16_e32 v55, v15, v9
	v_fmac_f16_e32 v49, 0xb8b4, v48
	v_add_f16_e32 v23, v53, v15
	;; [unrolled: 2-line block ×3, first 2 shown]
	v_add_f16_e32 v11, v11, v27
	v_add_f16_e32 v50, v50, v52
	v_fma_f16 v52, -0.5, v55, v43
	v_sub_f16_e32 v27, v54, v27
	v_add_f16_e32 v23, v23, v9
	v_sub_f16_e32 v19, v19, v44
	v_sub_f16_e32 v44, v13, v15
	;; [unrolled: 1-line block ×3, first 2 shown]
	v_fmac_f16_e32 v43, -0.5, v48
	v_sub_f16_e32 v13, v15, v13
	v_sub_f16_e32 v9, v9, v22
	v_add_f16_e32 v15, v51, v28
	v_fmac_f16_e32 v20, 0x34f2, v47
	v_fmac_f16_e32 v26, 0x34f2, v47
	v_fmamk_f16 v47, v27, 0x3b9c, v52
	v_fmac_f16_e32 v52, 0xbb9c, v27
	v_fmamk_f16 v48, v19, 0xbb9c, v43
	v_add_f16_e32 v9, v13, v9
	v_fmac_f16_e32 v43, 0x3b9c, v19
	v_add_f16_e32 v13, v15, v29
	v_add_f16_e32 v15, v29, v45
	v_fmac_f16_e32 v47, 0x38b4, v19
	v_fmac_f16_e32 v52, 0xb8b4, v19
	v_fmac_f16_e32 v48, 0x38b4, v27
	v_fmac_f16_e32 v43, 0xb8b4, v27
	v_add_f16_e32 v13, v13, v45
	v_add_f16_e32 v19, v28, v46
	;; [unrolled: 1-line block ×4, first 2 shown]
	v_fma_f16 v15, -0.5, v15, v51
	v_sub_f16_e32 v22, v14, v21
	v_fmac_f16_e32 v48, 0x34f2, v9
	v_fmac_f16_e32 v43, 0x34f2, v9
	v_add_f16_e32 v9, v13, v46
	v_sub_f16_e32 v13, v8, v10
	v_fmac_f16_e32 v51, -0.5, v19
	v_fmac_f16_e32 v47, 0x34f2, v44
	v_fmac_f16_e32 v52, 0x34f2, v44
	v_fmamk_f16 v19, v22, 0xbb9c, v15
	v_sub_f16_e32 v27, v28, v29
	v_sub_f16_e32 v44, v46, v45
	v_fmac_f16_e32 v15, 0x3b9c, v22
	v_fmac_f16_e32 v49, 0x34f2, v50
	;; [unrolled: 1-line block ×3, first 2 shown]
	v_fmamk_f16 v50, v13, 0x3b9c, v51
	v_fmac_f16_e32 v51, 0xbb9c, v13
	v_sub_f16_e32 v53, v29, v28
	v_sub_f16_e32 v54, v45, v46
	v_fmac_f16_e32 v19, 0xb8b4, v13
	v_add_f16_e32 v27, v27, v44
	v_fmac_f16_e32 v15, 0x38b4, v13
	v_add_f16_e32 v13, v8, v10
	v_fmac_f16_e32 v50, 0xb8b4, v22
	v_fmac_f16_e32 v51, 0x38b4, v22
	v_add_f16_e32 v22, v14, v21
	v_add_f16_e32 v44, v53, v54
	v_fmac_f16_e32 v19, 0x34f2, v27
	v_fmac_f16_e32 v15, 0x34f2, v27
	v_fma_f16 v13, -0.5, v13, v12
	v_sub_f16_e32 v27, v28, v46
	v_add_f16_e32 v28, v12, v14
	v_sub_f16_e32 v29, v29, v45
	v_fmac_f16_e32 v12, -0.5, v22
	v_fmac_f16_e32 v50, 0x34f2, v44
	v_fmac_f16_e32 v51, 0x34f2, v44
	v_fmamk_f16 v22, v27, 0x3b9c, v13
	v_sub_f16_e32 v44, v14, v8
	v_sub_f16_e32 v45, v21, v10
	v_fmamk_f16 v46, v29, 0xbb9c, v12
	v_sub_f16_e32 v14, v8, v14
	v_sub_f16_e32 v53, v10, v21
	v_fmac_f16_e32 v12, 0x3b9c, v29
	v_fmac_f16_e32 v13, 0xbb9c, v27
	;; [unrolled: 1-line block ×3, first 2 shown]
	v_add_f16_e32 v44, v44, v45
	v_fmac_f16_e32 v46, 0x38b4, v27
	v_add_f16_e32 v14, v14, v53
	v_fmac_f16_e32 v12, 0xb8b4, v27
	;; [unrolled: 2-line block ×3, first 2 shown]
	v_fmac_f16_e32 v22, 0x34f2, v44
	v_fmac_f16_e32 v46, 0x34f2, v14
	;; [unrolled: 1-line block ×3, first 2 shown]
	v_add_f16_e32 v8, v8, v10
	v_fmac_f16_e32 v13, 0x34f2, v44
	v_mul_f16_e32 v10, 0xb8b4, v22
	v_mul_f16_e32 v22, 0x3a79, v22
	;; [unrolled: 1-line block ×6, first 2 shown]
	v_add_f16_e32 v8, v8, v21
	v_mul_f16_e32 v21, 0xb8b4, v13
	v_mul_f16_e32 v13, 0xba79, v13
	v_fmac_f16_e32 v10, 0x3a79, v19
	v_fmac_f16_e32 v22, 0x38b4, v19
	;; [unrolled: 1-line block ×8, first 2 shown]
	v_add_f16_e32 v28, v11, v9
	v_add_f16_e32 v29, v20, v10
	v_add_f16_e32 v15, v23, v8
	v_add_f16_e32 v19, v47, v22
	v_add_f16_e32 v44, v49, v14
	v_add_f16_e32 v45, v18, v27
	v_add_f16_e32 v50, v48, v46
	v_add_f16_e32 v51, v43, v12
	v_add_f16_e32 v53, v26, v21
	v_add_f16_e32 v54, v52, v13
	v_sub_f16_e32 v9, v11, v9
	v_sub_f16_e32 v8, v23, v8
	;; [unrolled: 1-line block ×10, first 2 shown]
	v_pack_b32_f16 v15, v28, v15
	v_pack_b32_f16 v19, v29, v19
	;; [unrolled: 1-line block ×10, first 2 shown]
	ds_write2_b32 v61, v15, v19 offset1:204
	ds_write2_b32 v31, v22, v23 offset0:24 offset1:228
	ds_write2_b32 v32, v26, v8 offset0:48 offset1:252
	;; [unrolled: 1-line block ×4, first 2 shown]
	s_and_saveexec_b32 s1, s0
	s_cbranch_execz .LBB0_21
; %bb.20:
	v_mul_f16_sdwa v8, v3, v38 dst_sel:DWORD dst_unused:UNUSED_PAD src0_sel:WORD_1 src1_sel:DWORD
	v_mul_f16_sdwa v15, v3, v80 dst_sel:DWORD dst_unused:UNUSED_PAD src0_sel:WORD_1 src1_sel:DWORD
	;; [unrolled: 1-line block ×5, first 2 shown]
	v_fma_f16 v8, v3, v80, -v8
	v_fmac_f16_e32 v15, v3, v38
	v_mul_f16_sdwa v3, v63, v72 dst_sel:DWORD dst_unused:UNUSED_PAD src0_sel:WORD_1 src1_sel:DWORD
	v_fma_f16 v9, v5, v79, -v9
	v_mul_f16_sdwa v21, v4, v75 dst_sel:DWORD dst_unused:UNUSED_PAD src0_sel:WORD_1 src1_sel:DWORD
	v_fmac_f16_e32 v18, v5, v36
	v_fmac_f16_e32 v20, v2, v41
	v_mul_f16_sdwa v5, v6, v73 dst_sel:DWORD dst_unused:UNUSED_PAD src0_sel:WORD_1 src1_sel:DWORD
	v_mul_f16_sdwa v22, v4, v39 dst_sel:DWORD dst_unused:UNUSED_PAD src0_sel:WORD_1 src1_sel:DWORD
	v_fmac_f16_e32 v3, v63, v35
	v_mul_f16_sdwa v23, v6, v37 dst_sel:DWORD dst_unused:UNUSED_PAD src0_sel:WORD_1 src1_sel:DWORD
	v_mul_f16_sdwa v26, v0, v24 dst_sel:DWORD dst_unused:UNUSED_PAD src0_sel:WORD_1 src1_sel:DWORD
	v_fmac_f16_e32 v21, v4, v39
	v_fmac_f16_e32 v5, v6, v37
	v_fma_f16 v4, v4, v75, -v22
	v_mul_f16_sdwa v22, v0, v17 dst_sel:DWORD dst_unused:UNUSED_PAD src0_sel:WORD_1 src1_sel:DWORD
	v_fma_f16 v6, v6, v73, -v23
	v_fmac_f16_e32 v26, v0, v17
	v_mul_f16_sdwa v17, v2, v41 dst_sel:DWORD dst_unused:UNUSED_PAD src0_sel:WORD_1 src1_sel:DWORD
	v_mul_f16_sdwa v23, v63, v35 dst_sel:DWORD dst_unused:UNUSED_PAD src0_sel:WORD_1 src1_sel:DWORD
	v_add_f16_e32 v41, v20, v3
	v_mul_f16_sdwa v10, v1, v40 dst_sel:DWORD dst_unused:UNUSED_PAD src0_sel:WORD_1 src1_sel:DWORD
	v_mul_f16_sdwa v12, v1, v81 dst_sel:DWORD dst_unused:UNUSED_PAD src0_sel:WORD_1 src1_sel:DWORD
	;; [unrolled: 1-line block ×3, first 2 shown]
	v_fma_f16 v0, v0, v24, -v22
	v_add_f16_e32 v24, v21, v5
	v_fma_f16 v2, v2, v76, -v17
	v_fma_f16 v17, v63, v72, -v23
	v_sub_f16_e32 v36, v4, v6
	v_fma_f16 v41, -0.5, v41, v26
	v_mul_f16_sdwa v11, v7, v34 dst_sel:DWORD dst_unused:UNUSED_PAD src0_sel:WORD_1 src1_sel:DWORD
	v_fma_f16 v10, v1, v81, -v10
	v_add_f16_e32 v14, v8, v9
	v_fmac_f16_e32 v12, v1, v40
	v_fmac_f16_e32 v13, v7, v34
	v_add_f16_e32 v22, v4, v6
	v_fma_f16 v24, -0.5, v24, v26
	v_sub_f16_e32 v28, v2, v17
	v_add_f16_e32 v40, v2, v17
	v_fmamk_f16 v48, v36, 0xbb9c, v41
	v_fmac_f16_e32 v41, 0x3b9c, v36
	v_fma_f16 v11, v7, v74, -v11
	v_fma_f16 v14, -0.5, v14, v30
	v_sub_f16_e32 v19, v12, v13
	v_fma_f16 v22, -0.5, v22, v0
	v_sub_f16_e32 v29, v2, v4
	v_sub_f16_e32 v31, v17, v6
	v_fmamk_f16 v35, v28, 0x3b9c, v24
	v_fma_f16 v40, -0.5, v40, v0
	v_fmac_f16_e32 v48, 0x38b4, v28
	v_fmac_f16_e32 v41, 0xb8b4, v28
	;; [unrolled: 1-line block ×3, first 2 shown]
	v_add_f16_e32 v28, v10, v30
	v_add_f16_e32 v0, v2, v0
	v_sub_f16_e32 v1, v10, v8
	v_sub_f16_e32 v7, v11, v9
	;; [unrolled: 1-line block ×3, first 2 shown]
	v_add_f16_e32 v29, v29, v31
	v_fmamk_f16 v31, v19, 0xbb9c, v14
	v_sub_f16_e32 v37, v15, v18
	v_sub_f16_e32 v45, v4, v2
	v_fmac_f16_e32 v14, 0x3b9c, v19
	v_add_f16_e32 v2, v8, v28
	v_add_f16_e32 v0, v4, v0
	;; [unrolled: 1-line block ×3, first 2 shown]
	v_sub_f16_e32 v33, v21, v5
	v_fmamk_f16 v32, v27, 0xbb9c, v22
	v_add_f16_e32 v1, v1, v7
	v_fmac_f16_e32 v31, 0xb8b4, v37
	v_add_f16_e32 v38, v10, v11
	v_sub_f16_e32 v39, v8, v10
	v_sub_f16_e32 v42, v9, v11
	v_sub_f16_e32 v46, v6, v17
	v_fmac_f16_e32 v22, 0x3b9c, v27
	v_fmac_f16_e32 v14, 0x38b4, v37
	v_add_f16_e32 v2, v9, v2
	v_add_f16_e32 v0, v6, v0
	;; [unrolled: 1-line block ×3, first 2 shown]
	v_sub_f16_e32 v8, v8, v9
	v_fma_f16 v9, -0.5, v28, v16
	v_sub_f16_e32 v43, v21, v20
	v_sub_f16_e32 v44, v5, v3
	v_fmamk_f16 v47, v33, 0x3b9c, v40
	v_fmac_f16_e32 v40, 0xbb9c, v33
	v_sub_f16_e32 v23, v20, v21
	v_sub_f16_e32 v34, v3, v5
	v_fmac_f16_e32 v32, 0xb8b4, v33
	v_fmac_f16_e32 v35, 0x38b4, v36
	;; [unrolled: 1-line block ×3, first 2 shown]
	v_fma_f16 v38, -0.5, v38, v30
	v_fmac_f16_e32 v22, 0x38b4, v33
	v_fmac_f16_e32 v24, 0xb8b4, v36
	;; [unrolled: 1-line block ×3, first 2 shown]
	v_add_f16_e32 v1, v11, v2
	v_fma_f16 v6, -0.5, v6, v16
	v_sub_f16_e32 v10, v10, v11
	v_sub_f16_e32 v11, v12, v15
	;; [unrolled: 1-line block ×3, first 2 shown]
	v_fmamk_f16 v36, v8, 0xbb9c, v9
	v_fmac_f16_e32 v9, 0x3b9c, v8
	v_add_f16_e32 v12, v12, v16
	v_add_f16_e32 v16, v20, v26
	;; [unrolled: 1-line block ×4, first 2 shown]
	v_fmac_f16_e32 v47, 0xb8b4, v27
	v_fmac_f16_e32 v40, 0x38b4, v27
	v_add_f16_e32 v23, v23, v34
	v_fmac_f16_e32 v32, 0x34f2, v29
	v_fmac_f16_e32 v22, 0x34f2, v29
	v_sub_f16_e32 v28, v13, v18
	v_fmamk_f16 v29, v10, 0x3b9c, v6
	v_fmac_f16_e32 v36, 0x38b4, v10
	v_fmac_f16_e32 v9, 0xb8b4, v10
	;; [unrolled: 1-line block ×3, first 2 shown]
	v_add_f16_e32 v10, v15, v12
	v_add_f16_e32 v12, v21, v16
	v_fmamk_f16 v49, v37, 0x3b9c, v38
	v_fmac_f16_e32 v47, 0x34f2, v44
	v_fmac_f16_e32 v38, 0xbb9c, v37
	;; [unrolled: 1-line block ×3, first 2 shown]
	v_sub_f16_e32 v33, v18, v13
	v_fmac_f16_e32 v24, 0x34f2, v23
	v_mul_f16_e32 v4, 0x3a79, v22
	v_add_f16_e32 v11, v11, v28
	v_fmac_f16_e32 v29, 0x38b4, v8
	v_fmac_f16_e32 v6, 0xb8b4, v8
	v_mul_f16_e32 v8, 0xb8b4, v22
	v_add_f16_e32 v10, v18, v10
	v_add_f16_e32 v5, v5, v12
	v_mul_f16_e32 v7, 0xba79, v32
	v_add_f16_e32 v39, v39, v42
	v_fmac_f16_e32 v49, 0xb8b4, v19
	v_fmac_f16_e32 v48, 0x34f2, v43
	v_mul_f16_e32 v42, 0xb4f2, v47
	v_fmac_f16_e32 v38, 0x38b4, v19
	v_fmac_f16_e32 v41, 0x34f2, v43
	v_mul_f16_e32 v27, 0x34f2, v40
	v_mul_f16_e32 v28, 0xb8b4, v32
	v_add_f16_e32 v30, v30, v33
	v_mul_f16_e32 v32, 0xbb9c, v47
	v_mul_f16_e32 v15, 0xbb9c, v40
	v_fmac_f16_e32 v35, 0x34f2, v23
	v_fmac_f16_e32 v4, 0x38b4, v24
	v_add_f16_e32 v0, v17, v0
	v_fmac_f16_e32 v6, 0x34f2, v11
	v_fmac_f16_e32 v8, 0x3a79, v24
	v_add_f16_e32 v10, v13, v10
	v_add_f16_e32 v3, v3, v5
	v_fmac_f16_e32 v49, 0x34f2, v39
	v_fmac_f16_e32 v42, 0x3b9c, v48
	;; [unrolled: 1-line block ×11, first 2 shown]
	v_sub_f16_e32 v19, v14, v4
	v_sub_f16_e32 v23, v1, v0
	;; [unrolled: 1-line block ×3, first 2 shown]
	v_add_f16_e32 v4, v14, v4
	v_add_f16_e32 v0, v1, v0
	;; [unrolled: 1-line block ×4, first 2 shown]
	v_sub_f16_e32 v12, v9, v15
	v_sub_f16_e32 v13, v6, v8
	v_add_f16_e32 v18, v49, v42
	v_add_f16_e32 v20, v38, v27
	;; [unrolled: 1-line block ×4, first 2 shown]
	v_sub_f16_e32 v34, v31, v7
	v_add_f16_e32 v7, v31, v7
	v_add_f16_e32 v6, v29, v28
	v_sub_f16_e32 v17, v38, v27
	v_sub_f16_e32 v2, v49, v42
	;; [unrolled: 1-line block ×4, first 2 shown]
	v_pack_b32_f16 v0, v1, v0
	v_pack_b32_f16 v1, v3, v4
	v_add_nc_u32_e32 v3, 0x200, v61
	v_pack_b32_f16 v4, v8, v20
	v_pack_b32_f16 v8, v9, v18
	v_add_nc_u32_e32 v9, 0x900, v61
	;; [unrolled: 3-line block ×5, first 2 shown]
	ds_write2_b32 v3, v0, v1 offset0:42 offset1:246
	ds_write2_b32 v9, v4, v8 offset0:2 offset1:206
	;; [unrolled: 1-line block ×5, first 2 shown]
.LBB0_21:
	s_or_b32 exec_lo, exec_lo, s1
	s_waitcnt lgkmcnt(0)
	s_barrier
	buffer_gl0_inv
	s_and_b32 exec_lo, exec_lo, vcc_lo
	s_cbranch_execz .LBB0_23
; %bb.22:
	global_load_dword v0, v59, s[12:13]
	ds_read_b32 v1, v61
	s_mov_b32 s8, 0x10101010
	s_mov_b32 s9, 0x3f401010
	v_mad_u64_u32 v[6:7], null, s4, v60, 0
	s_mul_hi_u32 s3, s4, 0x1e0
	s_waitcnt lgkmcnt(0)
	v_lshrrev_b32_e32 v2, 16, v1
	s_waitcnt vmcnt(0)
	v_mul_f16_sdwa v3, v2, v0 dst_sel:DWORD dst_unused:UNUSED_PAD src0_sel:DWORD src1_sel:WORD_1
	v_mul_f16_sdwa v4, v1, v0 dst_sel:DWORD dst_unused:UNUSED_PAD src0_sel:DWORD src1_sel:WORD_1
	v_fmac_f16_e32 v3, v1, v0
	v_fma_f16 v0, v0, v2, -v4
	v_mad_u64_u32 v[4:5], null, s6, v25, 0
	s_mul_i32 s6, s4, 0x1e0
	v_cvt_f32_f16_e32 v1, v3
	v_cvt_f32_f16_e32 v2, v0
	v_cvt_f64_f32_e32 v[0:1], v1
	v_cvt_f64_f32_e32 v[2:3], v2
	v_mul_f64 v[0:1], v[0:1], s[8:9]
	v_mul_f64 v[2:3], v[2:3], s[8:9]
	v_and_or_b32 v0, 0x1ff, v1, v0
	v_and_or_b32 v2, 0x1ff, v3, v2
	v_lshrrev_b32_e32 v8, 8, v1
	v_bfe_u32 v10, v1, 20, 11
	v_lshrrev_b32_e32 v9, 8, v3
	v_cmp_ne_u32_e32 vcc_lo, 0, v0
	v_bfe_u32 v11, v3, 20, 11
	v_mov_b32_e32 v0, v7
	v_sub_nc_u32_e32 v13, 0x3f1, v10
	v_add_nc_u32_e32 v10, 0xfffffc10, v10
	v_cndmask_b32_e64 v12, 0, 1, vcc_lo
	v_cmp_ne_u32_e32 vcc_lo, 0, v2
	v_sub_nc_u32_e32 v14, 0x3f1, v11
	v_med3_i32 v13, v13, 0, 13
	v_add_nc_u32_e32 v11, 0xfffffc10, v11
	v_and_or_b32 v12, 0xffe, v8, v12
	v_cndmask_b32_e64 v2, 0, 1, vcc_lo
	v_mad_u64_u32 v[7:8], null, s7, v25, v[5:6]
	v_med3_i32 v14, v14, 0, 13
	v_or_b32_e32 v15, 0x1000, v12
	v_and_or_b32 v2, 0xffe, v9, v2
	v_mad_u64_u32 v[8:9], null, s5, v60, v[0:1]
	v_lshrrev_b32_e32 v1, 16, v1
	v_lshrrev_b32_e32 v0, v13, v15
	v_or_b32_e32 v16, 0x1000, v2
	v_mov_b32_e32 v5, v7
	v_lshrrev_b32_e32 v3, 16, v3
	v_mov_b32_e32 v7, v8
	v_lshrrev_b32_e32 v9, v14, v16
	v_lshlrev_b32_e32 v13, v13, v0
	v_lshlrev_b64 v[4:5], 2, v[4:5]
	v_lshlrev_b64 v[6:7], 2, v[6:7]
	v_lshlrev_b32_e32 v8, v14, v9
	v_cmp_ne_u32_e32 vcc_lo, v13, v15
	v_lshl_or_b32 v14, v10, 12, v12
	v_cndmask_b32_e64 v13, 0, 1, vcc_lo
	v_cmp_ne_u32_e32 vcc_lo, v8, v16
	v_or_b32_e32 v0, v0, v13
	v_cndmask_b32_e64 v8, 0, 1, vcc_lo
	v_cmp_gt_i32_e32 vcc_lo, 1, v10
	v_lshl_or_b32 v13, v11, 12, v2
	v_or_b32_e32 v8, v9, v8
	v_cndmask_b32_e32 v0, v14, v0, vcc_lo
	v_cmp_gt_i32_e32 vcc_lo, 1, v11
	v_cndmask_b32_e32 v8, v13, v8, vcc_lo
	v_cmp_ne_u32_e32 vcc_lo, 0, v12
	v_and_b32_e32 v12, 7, v0
	v_lshrrev_b32_e32 v0, 2, v0
	v_and_b32_e32 v13, 7, v8
	v_cndmask_b32_e64 v9, 0, 1, vcc_lo
	v_cmp_ne_u32_e32 vcc_lo, 0, v2
	v_cmp_eq_u32_e64 s0, 3, v12
	v_lshrrev_b32_e32 v8, 2, v8
	v_cmp_lt_i32_e64 s1, 5, v13
	v_cmp_eq_u32_e64 s2, 3, v13
	v_cndmask_b32_e64 v2, 0, 1, vcc_lo
	v_cmp_lt_i32_e32 vcc_lo, 5, v12
	v_lshl_or_b32 v9, v9, 9, 0x7c00
	v_lshl_or_b32 v2, v2, 9, 0x7c00
	s_or_b32 vcc_lo, s0, vcc_lo
	v_add_co_ci_u32_e32 v0, vcc_lo, 0, v0, vcc_lo
	s_or_b32 vcc_lo, s2, s1
	v_add_co_ci_u32_e32 v8, vcc_lo, 0, v8, vcc_lo
	v_cmp_gt_i32_e32 vcc_lo, 31, v10
	v_cndmask_b32_e32 v0, 0x7c00, v0, vcc_lo
	v_cmp_gt_i32_e32 vcc_lo, 31, v11
	v_cndmask_b32_e32 v8, 0x7c00, v8, vcc_lo
	v_cmp_eq_u32_e32 vcc_lo, 0x40f, v10
	v_cndmask_b32_e32 v0, v0, v9, vcc_lo
	v_cmp_eq_u32_e32 vcc_lo, 0x40f, v11
	v_cndmask_b32_e32 v2, v8, v2, vcc_lo
	v_and_or_b32 v8, 0x8000, v1, v0
	v_add_co_u32 v0, vcc_lo, s14, v4
	v_add_co_ci_u32_e32 v1, vcc_lo, s15, v5, vcc_lo
	v_and_or_b32 v4, 0x8000, v3, v2
	v_and_b32_e32 v5, 0xffff, v8
	v_add_co_u32 v2, vcc_lo, v0, v6
	v_add_co_ci_u32_e32 v3, vcc_lo, v1, v7, vcc_lo
	v_lshl_or_b32 v4, v4, 16, v5
	global_store_dword v[2:3], v4, off
	global_load_dword v6, v59, s[12:13] offset:480
	ds_read2_b32 v[4:5], v59 offset0:120 offset1:240
	s_waitcnt lgkmcnt(0)
	v_lshrrev_b32_e32 v7, 16, v4
	s_waitcnt vmcnt(0)
	v_mul_f16_sdwa v8, v7, v6 dst_sel:DWORD dst_unused:UNUSED_PAD src0_sel:DWORD src1_sel:WORD_1
	v_mul_f16_sdwa v9, v4, v6 dst_sel:DWORD dst_unused:UNUSED_PAD src0_sel:DWORD src1_sel:WORD_1
	v_fmac_f16_e32 v8, v4, v6
	v_fma_f16 v4, v6, v7, -v9
	v_cvt_f32_f16_e32 v6, v8
	v_cvt_f32_f16_e32 v4, v4
	v_cvt_f64_f32_e32 v[6:7], v6
	v_cvt_f64_f32_e32 v[8:9], v4
	v_mul_f64 v[6:7], v[6:7], s[8:9]
	v_mul_f64 v[8:9], v[8:9], s[8:9]
	v_and_or_b32 v4, 0x1ff, v7, v6
	v_and_or_b32 v8, 0x1ff, v9, v8
	v_lshrrev_b32_e32 v6, 8, v7
	v_bfe_u32 v10, v7, 20, 11
	v_lshrrev_b32_e32 v11, 8, v9
	v_cmp_ne_u32_e32 vcc_lo, 0, v4
	v_bfe_u32 v12, v9, 20, 11
	v_lshrrev_b32_e32 v7, 16, v7
	v_sub_nc_u32_e32 v13, 0x3f1, v10
	v_add_nc_u32_e32 v10, 0xfffffc10, v10
	v_cndmask_b32_e64 v4, 0, 1, vcc_lo
	v_cmp_ne_u32_e32 vcc_lo, 0, v8
	v_lshrrev_b32_e32 v9, 16, v9
	v_and_or_b32 v4, 0xffe, v6, v4
	v_cndmask_b32_e64 v8, 0, 1, vcc_lo
	v_sub_nc_u32_e32 v6, 0x3f1, v12
	v_add_nc_u32_e32 v12, 0xfffffc10, v12
	v_and_or_b32 v8, 0xffe, v11, v8
	v_med3_i32 v11, v13, 0, 13
	v_or_b32_e32 v13, 0x1000, v4
	v_med3_i32 v6, v6, 0, 13
	v_or_b32_e32 v14, 0x1000, v8
	v_lshrrev_b32_e32 v15, v11, v13
	v_lshrrev_b32_e32 v16, v6, v14
	v_lshlrev_b32_e32 v11, v11, v15
	v_lshlrev_b32_e32 v6, v6, v16
	v_cmp_ne_u32_e32 vcc_lo, v11, v13
	v_lshl_or_b32 v13, v10, 12, v4
	v_cndmask_b32_e64 v11, 0, 1, vcc_lo
	v_cmp_ne_u32_e32 vcc_lo, v6, v14
	v_lshl_or_b32 v14, v12, 12, v8
	v_or_b32_e32 v11, v15, v11
	v_cndmask_b32_e64 v6, 0, 1, vcc_lo
	v_cmp_gt_i32_e32 vcc_lo, 1, v10
	v_or_b32_e32 v6, v16, v6
	v_cndmask_b32_e32 v11, v13, v11, vcc_lo
	v_cmp_gt_i32_e32 vcc_lo, 1, v12
	v_and_b32_e32 v13, 7, v11
	v_cndmask_b32_e32 v6, v14, v6, vcc_lo
	v_cmp_ne_u32_e32 vcc_lo, 0, v4
	v_lshrrev_b32_e32 v11, 2, v11
	v_cmp_eq_u32_e64 s0, 3, v13
	v_and_b32_e32 v14, 7, v6
	v_cndmask_b32_e64 v4, 0, 1, vcc_lo
	v_cmp_ne_u32_e32 vcc_lo, 0, v8
	v_lshrrev_b32_e32 v6, 2, v6
	v_cmp_lt_i32_e64 s1, 5, v14
	v_cmp_eq_u32_e64 s2, 3, v14
	v_cndmask_b32_e64 v8, 0, 1, vcc_lo
	v_cmp_lt_i32_e32 vcc_lo, 5, v13
	v_lshl_or_b32 v4, v4, 9, 0x7c00
	v_lshl_or_b32 v8, v8, 9, 0x7c00
	s_or_b32 vcc_lo, s0, vcc_lo
	s_mul_i32 s0, s5, 0x1e0
	v_add_co_ci_u32_e32 v11, vcc_lo, 0, v11, vcc_lo
	s_or_b32 vcc_lo, s2, s1
	s_add_i32 s3, s3, s0
	v_add_co_ci_u32_e32 v6, vcc_lo, 0, v6, vcc_lo
	v_cmp_gt_i32_e32 vcc_lo, 31, v10
	v_cndmask_b32_e32 v11, 0x7c00, v11, vcc_lo
	v_cmp_gt_i32_e32 vcc_lo, 31, v12
	v_cndmask_b32_e32 v6, 0x7c00, v6, vcc_lo
	v_cmp_eq_u32_e32 vcc_lo, 0x40f, v10
	v_cndmask_b32_e32 v4, v11, v4, vcc_lo
	v_cmp_eq_u32_e32 vcc_lo, 0x40f, v12
	v_and_or_b32 v4, 0x8000, v7, v4
	v_cndmask_b32_e32 v6, v6, v8, vcc_lo
	v_add_co_u32 v2, vcc_lo, v2, s6
	v_add_co_ci_u32_e32 v3, vcc_lo, s3, v3, vcc_lo
	v_and_or_b32 v6, 0x8000, v9, v6
	v_and_b32_e32 v4, 0xffff, v4
	v_lshl_or_b32 v4, v6, 16, v4
	v_lshrrev_b32_e32 v6, 16, v5
	global_store_dword v[2:3], v4, off
	global_load_dword v4, v59, s[12:13] offset:960
	s_waitcnt vmcnt(0)
	v_mul_f16_sdwa v7, v6, v4 dst_sel:DWORD dst_unused:UNUSED_PAD src0_sel:DWORD src1_sel:WORD_1
	v_mul_f16_sdwa v8, v5, v4 dst_sel:DWORD dst_unused:UNUSED_PAD src0_sel:DWORD src1_sel:WORD_1
	v_fmac_f16_e32 v7, v5, v4
	v_fma_f16 v4, v4, v6, -v8
	v_cvt_f32_f16_e32 v5, v7
	v_cvt_f32_f16_e32 v6, v4
	v_cvt_f64_f32_e32 v[4:5], v5
	v_cvt_f64_f32_e32 v[6:7], v6
	v_mul_f64 v[4:5], v[4:5], s[8:9]
	v_mul_f64 v[6:7], v[6:7], s[8:9]
	v_and_or_b32 v4, 0x1ff, v5, v4
	v_and_or_b32 v6, 0x1ff, v7, v6
	v_lshrrev_b32_e32 v8, 8, v5
	v_bfe_u32 v9, v5, 20, 11
	v_lshrrev_b32_e32 v10, 8, v7
	v_cmp_ne_u32_e32 vcc_lo, 0, v4
	v_bfe_u32 v11, v7, 20, 11
	v_lshrrev_b32_e32 v5, 16, v5
	v_sub_nc_u32_e32 v12, 0x3f1, v9
	v_add_nc_u32_e32 v9, 0xfffffc10, v9
	v_cndmask_b32_e64 v4, 0, 1, vcc_lo
	v_cmp_ne_u32_e32 vcc_lo, 0, v6
	v_lshrrev_b32_e32 v7, 16, v7
	v_and_or_b32 v4, 0xffe, v8, v4
	v_cndmask_b32_e64 v6, 0, 1, vcc_lo
	v_sub_nc_u32_e32 v8, 0x3f1, v11
	v_add_nc_u32_e32 v11, 0xfffffc10, v11
	v_and_or_b32 v6, 0xffe, v10, v6
	v_med3_i32 v10, v12, 0, 13
	v_or_b32_e32 v12, 0x1000, v4
	v_med3_i32 v8, v8, 0, 13
	v_or_b32_e32 v13, 0x1000, v6
	v_lshrrev_b32_e32 v14, v10, v12
	v_lshrrev_b32_e32 v15, v8, v13
	v_lshlrev_b32_e32 v10, v10, v14
	v_lshlrev_b32_e32 v8, v8, v15
	v_cmp_ne_u32_e32 vcc_lo, v10, v12
	v_lshl_or_b32 v12, v9, 12, v4
	v_cndmask_b32_e64 v10, 0, 1, vcc_lo
	v_cmp_ne_u32_e32 vcc_lo, v8, v13
	v_lshl_or_b32 v13, v11, 12, v6
	v_or_b32_e32 v10, v14, v10
	v_cndmask_b32_e64 v8, 0, 1, vcc_lo
	v_cmp_gt_i32_e32 vcc_lo, 1, v9
	v_or_b32_e32 v8, v15, v8
	v_cndmask_b32_e32 v10, v12, v10, vcc_lo
	v_cmp_gt_i32_e32 vcc_lo, 1, v11
	v_and_b32_e32 v12, 7, v10
	v_cndmask_b32_e32 v8, v13, v8, vcc_lo
	v_cmp_ne_u32_e32 vcc_lo, 0, v4
	v_lshrrev_b32_e32 v10, 2, v10
	v_cmp_eq_u32_e64 s0, 3, v12
	v_and_b32_e32 v13, 7, v8
	v_cndmask_b32_e64 v4, 0, 1, vcc_lo
	v_cmp_ne_u32_e32 vcc_lo, 0, v6
	v_lshrrev_b32_e32 v8, 2, v8
	v_cmp_lt_i32_e64 s1, 5, v13
	v_cmp_eq_u32_e64 s2, 3, v13
	v_cndmask_b32_e64 v6, 0, 1, vcc_lo
	v_cmp_lt_i32_e32 vcc_lo, 5, v12
	v_lshl_or_b32 v4, v4, 9, 0x7c00
	v_lshl_or_b32 v6, v6, 9, 0x7c00
	s_or_b32 vcc_lo, s0, vcc_lo
	v_add_co_ci_u32_e32 v10, vcc_lo, 0, v10, vcc_lo
	s_or_b32 vcc_lo, s2, s1
	v_add_co_ci_u32_e32 v8, vcc_lo, 0, v8, vcc_lo
	v_cmp_gt_i32_e32 vcc_lo, 31, v9
	v_cndmask_b32_e32 v10, 0x7c00, v10, vcc_lo
	v_cmp_gt_i32_e32 vcc_lo, 31, v11
	v_cndmask_b32_e32 v8, 0x7c00, v8, vcc_lo
	v_cmp_eq_u32_e32 vcc_lo, 0x40f, v9
	v_cndmask_b32_e32 v4, v10, v4, vcc_lo
	v_cmp_eq_u32_e32 vcc_lo, 0x40f, v11
	v_and_or_b32 v4, 0x8000, v5, v4
	v_cndmask_b32_e32 v6, v8, v6, vcc_lo
	v_add_co_u32 v2, vcc_lo, v2, s6
	v_add_co_ci_u32_e32 v3, vcc_lo, s3, v3, vcc_lo
	v_and_or_b32 v5, 0x8000, v7, v6
	v_and_b32_e32 v4, 0xffff, v4
	v_lshl_or_b32 v4, v5, 16, v4
	global_store_dword v[2:3], v4, off
	global_load_dword v6, v59, s[12:13] offset:1440
	v_add_nc_u32_e32 v4, 0x400, v59
	ds_read2_b32 v[4:5], v4 offset0:104 offset1:224
	s_waitcnt lgkmcnt(0)
	v_lshrrev_b32_e32 v7, 16, v4
	s_waitcnt vmcnt(0)
	v_mul_f16_sdwa v8, v7, v6 dst_sel:DWORD dst_unused:UNUSED_PAD src0_sel:DWORD src1_sel:WORD_1
	v_mul_f16_sdwa v9, v4, v6 dst_sel:DWORD dst_unused:UNUSED_PAD src0_sel:DWORD src1_sel:WORD_1
	v_fmac_f16_e32 v8, v4, v6
	v_fma_f16 v4, v6, v7, -v9
	v_cvt_f32_f16_e32 v6, v8
	v_cvt_f32_f16_e32 v4, v4
	v_cvt_f64_f32_e32 v[6:7], v6
	v_cvt_f64_f32_e32 v[8:9], v4
	v_mul_f64 v[6:7], v[6:7], s[8:9]
	v_mul_f64 v[8:9], v[8:9], s[8:9]
	v_and_or_b32 v4, 0x1ff, v7, v6
	v_and_or_b32 v8, 0x1ff, v9, v8
	v_lshrrev_b32_e32 v6, 8, v7
	v_bfe_u32 v10, v7, 20, 11
	v_lshrrev_b32_e32 v11, 8, v9
	v_cmp_ne_u32_e32 vcc_lo, 0, v4
	v_bfe_u32 v12, v9, 20, 11
	v_lshrrev_b32_e32 v7, 16, v7
	v_sub_nc_u32_e32 v13, 0x3f1, v10
	v_add_nc_u32_e32 v10, 0xfffffc10, v10
	v_cndmask_b32_e64 v4, 0, 1, vcc_lo
	v_cmp_ne_u32_e32 vcc_lo, 0, v8
	v_lshrrev_b32_e32 v9, 16, v9
	v_and_or_b32 v4, 0xffe, v6, v4
	v_cndmask_b32_e64 v8, 0, 1, vcc_lo
	v_sub_nc_u32_e32 v6, 0x3f1, v12
	v_add_nc_u32_e32 v12, 0xfffffc10, v12
	v_and_or_b32 v8, 0xffe, v11, v8
	v_med3_i32 v11, v13, 0, 13
	v_or_b32_e32 v13, 0x1000, v4
	v_med3_i32 v6, v6, 0, 13
	v_or_b32_e32 v14, 0x1000, v8
	v_lshrrev_b32_e32 v15, v11, v13
	v_lshrrev_b32_e32 v16, v6, v14
	v_lshlrev_b32_e32 v11, v11, v15
	v_lshlrev_b32_e32 v6, v6, v16
	v_cmp_ne_u32_e32 vcc_lo, v11, v13
	v_lshl_or_b32 v13, v10, 12, v4
	v_cndmask_b32_e64 v11, 0, 1, vcc_lo
	v_cmp_ne_u32_e32 vcc_lo, v6, v14
	v_lshl_or_b32 v14, v12, 12, v8
	v_or_b32_e32 v11, v15, v11
	v_cndmask_b32_e64 v6, 0, 1, vcc_lo
	v_cmp_gt_i32_e32 vcc_lo, 1, v10
	v_or_b32_e32 v6, v16, v6
	v_cndmask_b32_e32 v11, v13, v11, vcc_lo
	v_cmp_gt_i32_e32 vcc_lo, 1, v12
	v_and_b32_e32 v13, 7, v11
	v_cndmask_b32_e32 v6, v14, v6, vcc_lo
	v_cmp_ne_u32_e32 vcc_lo, 0, v4
	v_lshrrev_b32_e32 v11, 2, v11
	v_cmp_eq_u32_e64 s0, 3, v13
	v_and_b32_e32 v14, 7, v6
	v_cndmask_b32_e64 v4, 0, 1, vcc_lo
	v_cmp_ne_u32_e32 vcc_lo, 0, v8
	v_lshrrev_b32_e32 v6, 2, v6
	v_cmp_lt_i32_e64 s1, 5, v14
	v_cmp_eq_u32_e64 s2, 3, v14
	v_cndmask_b32_e64 v8, 0, 1, vcc_lo
	v_cmp_lt_i32_e32 vcc_lo, 5, v13
	v_lshl_or_b32 v4, v4, 9, 0x7c00
	v_lshl_or_b32 v8, v8, 9, 0x7c00
	s_or_b32 vcc_lo, s0, vcc_lo
	v_add_co_ci_u32_e32 v11, vcc_lo, 0, v11, vcc_lo
	s_or_b32 vcc_lo, s2, s1
	v_add_co_ci_u32_e32 v6, vcc_lo, 0, v6, vcc_lo
	v_cmp_gt_i32_e32 vcc_lo, 31, v10
	v_cndmask_b32_e32 v11, 0x7c00, v11, vcc_lo
	v_cmp_gt_i32_e32 vcc_lo, 31, v12
	v_cndmask_b32_e32 v6, 0x7c00, v6, vcc_lo
	v_cmp_eq_u32_e32 vcc_lo, 0x40f, v10
	v_cndmask_b32_e32 v4, v11, v4, vcc_lo
	v_cmp_eq_u32_e32 vcc_lo, 0x40f, v12
	v_and_or_b32 v4, 0x8000, v7, v4
	v_cndmask_b32_e32 v6, v6, v8, vcc_lo
	v_and_b32_e32 v4, 0xffff, v4
	v_and_or_b32 v8, 0x8000, v9, v6
	v_add_co_u32 v6, vcc_lo, v2, s6
	v_add_co_ci_u32_e32 v7, vcc_lo, s3, v3, vcc_lo
	v_lshl_or_b32 v2, v8, 16, v4
	v_lshrrev_b32_e32 v3, 16, v5
	global_store_dword v[6:7], v2, off
	global_load_dword v2, v59, s[12:13] offset:1920
	s_waitcnt vmcnt(0)
	v_mul_f16_sdwa v4, v3, v2 dst_sel:DWORD dst_unused:UNUSED_PAD src0_sel:DWORD src1_sel:WORD_1
	v_mul_f16_sdwa v8, v5, v2 dst_sel:DWORD dst_unused:UNUSED_PAD src0_sel:DWORD src1_sel:WORD_1
	v_fmac_f16_e32 v4, v5, v2
	v_fma_f16 v2, v2, v3, -v8
	v_cvt_f32_f16_e32 v3, v4
	v_cvt_f32_f16_e32 v4, v2
	v_cvt_f64_f32_e32 v[2:3], v3
	v_cvt_f64_f32_e32 v[4:5], v4
	v_mul_f64 v[2:3], v[2:3], s[8:9]
	v_mul_f64 v[4:5], v[4:5], s[8:9]
	v_and_or_b32 v2, 0x1ff, v3, v2
	v_and_or_b32 v4, 0x1ff, v5, v4
	v_lshrrev_b32_e32 v8, 8, v3
	v_bfe_u32 v9, v3, 20, 11
	v_lshrrev_b32_e32 v10, 8, v5
	v_cmp_ne_u32_e32 vcc_lo, 0, v2
	v_bfe_u32 v11, v5, 20, 11
	v_lshrrev_b32_e32 v3, 16, v3
	v_sub_nc_u32_e32 v12, 0x3f1, v9
	v_add_nc_u32_e32 v9, 0xfffffc10, v9
	v_cndmask_b32_e64 v2, 0, 1, vcc_lo
	v_cmp_ne_u32_e32 vcc_lo, 0, v4
	v_lshrrev_b32_e32 v5, 16, v5
	v_and_or_b32 v2, 0xffe, v8, v2
	v_cndmask_b32_e64 v4, 0, 1, vcc_lo
	v_sub_nc_u32_e32 v8, 0x3f1, v11
	v_add_nc_u32_e32 v11, 0xfffffc10, v11
	v_and_or_b32 v4, 0xffe, v10, v4
	v_med3_i32 v10, v12, 0, 13
	v_or_b32_e32 v12, 0x1000, v2
	v_med3_i32 v8, v8, 0, 13
	v_or_b32_e32 v13, 0x1000, v4
	v_lshrrev_b32_e32 v14, v10, v12
	v_lshrrev_b32_e32 v15, v8, v13
	v_lshlrev_b32_e32 v10, v10, v14
	v_lshlrev_b32_e32 v8, v8, v15
	v_cmp_ne_u32_e32 vcc_lo, v10, v12
	v_lshl_or_b32 v12, v9, 12, v2
	v_cndmask_b32_e64 v10, 0, 1, vcc_lo
	v_cmp_ne_u32_e32 vcc_lo, v8, v13
	v_lshl_or_b32 v13, v11, 12, v4
	v_or_b32_e32 v10, v14, v10
	v_cndmask_b32_e64 v8, 0, 1, vcc_lo
	v_cmp_gt_i32_e32 vcc_lo, 1, v9
	v_or_b32_e32 v8, v15, v8
	v_cndmask_b32_e32 v10, v12, v10, vcc_lo
	v_cmp_gt_i32_e32 vcc_lo, 1, v11
	v_and_b32_e32 v12, 7, v10
	v_cndmask_b32_e32 v8, v13, v8, vcc_lo
	v_cmp_ne_u32_e32 vcc_lo, 0, v2
	v_lshrrev_b32_e32 v10, 2, v10
	v_cmp_eq_u32_e64 s0, 3, v12
	v_and_b32_e32 v13, 7, v8
	v_cndmask_b32_e64 v2, 0, 1, vcc_lo
	v_cmp_ne_u32_e32 vcc_lo, 0, v4
	v_lshrrev_b32_e32 v8, 2, v8
	v_cmp_lt_i32_e64 s1, 5, v13
	v_cmp_eq_u32_e64 s2, 3, v13
	v_cndmask_b32_e64 v4, 0, 1, vcc_lo
	v_cmp_lt_i32_e32 vcc_lo, 5, v12
	v_lshl_or_b32 v2, v2, 9, 0x7c00
	v_lshl_or_b32 v4, v4, 9, 0x7c00
	s_or_b32 vcc_lo, s0, vcc_lo
	v_add_co_ci_u32_e32 v10, vcc_lo, 0, v10, vcc_lo
	s_or_b32 vcc_lo, s2, s1
	v_add_co_ci_u32_e32 v8, vcc_lo, 0, v8, vcc_lo
	v_cmp_gt_i32_e32 vcc_lo, 31, v9
	v_cndmask_b32_e32 v10, 0x7c00, v10, vcc_lo
	v_cmp_gt_i32_e32 vcc_lo, 31, v11
	v_cndmask_b32_e32 v8, 0x7c00, v8, vcc_lo
	v_cmp_eq_u32_e32 vcc_lo, 0x40f, v9
	v_cndmask_b32_e32 v2, v10, v2, vcc_lo
	v_cmp_eq_u32_e32 vcc_lo, 0x40f, v11
	v_cndmask_b32_e32 v4, v8, v4, vcc_lo
	v_and_or_b32 v8, 0x8000, v3, v2
	v_add_co_u32 v2, s0, s12, v59
	v_add_co_ci_u32_e64 v3, null, s13, 0, s0
	v_and_or_b32 v9, 0x8000, v5, v4
	v_and_b32_e32 v8, 0xffff, v8
	v_add_co_u32 v4, vcc_lo, v6, s6
	v_add_co_ci_u32_e32 v5, vcc_lo, s3, v7, vcc_lo
	v_add_co_u32 v6, vcc_lo, 0x800, v2
	v_lshl_or_b32 v8, v9, 16, v8
	v_add_co_ci_u32_e32 v7, vcc_lo, 0, v3, vcc_lo
	global_store_dword v[4:5], v8, off
	global_load_dword v10, v[6:7], off offset:352
	v_add_nc_u32_e32 v8, 0x800, v59
	ds_read2_b32 v[8:9], v8 offset0:88 offset1:208
	s_waitcnt lgkmcnt(0)
	v_lshrrev_b32_e32 v11, 16, v8
	s_waitcnt vmcnt(0)
	v_mul_f16_sdwa v12, v11, v10 dst_sel:DWORD dst_unused:UNUSED_PAD src0_sel:DWORD src1_sel:WORD_1
	v_mul_f16_sdwa v13, v8, v10 dst_sel:DWORD dst_unused:UNUSED_PAD src0_sel:DWORD src1_sel:WORD_1
	v_fmac_f16_e32 v12, v8, v10
	v_fma_f16 v8, v10, v11, -v13
	v_cvt_f32_f16_e32 v10, v12
	v_cvt_f32_f16_e32 v8, v8
	v_cvt_f64_f32_e32 v[10:11], v10
	v_cvt_f64_f32_e32 v[12:13], v8
	v_mul_f64 v[10:11], v[10:11], s[8:9]
	v_mul_f64 v[12:13], v[12:13], s[8:9]
	v_and_or_b32 v8, 0x1ff, v11, v10
	v_and_or_b32 v12, 0x1ff, v13, v12
	v_lshrrev_b32_e32 v10, 8, v11
	v_bfe_u32 v14, v11, 20, 11
	v_lshrrev_b32_e32 v15, 8, v13
	v_cmp_ne_u32_e32 vcc_lo, 0, v8
	v_bfe_u32 v16, v13, 20, 11
	v_lshrrev_b32_e32 v11, 16, v11
	v_sub_nc_u32_e32 v17, 0x3f1, v14
	v_add_nc_u32_e32 v14, 0xfffffc10, v14
	v_cndmask_b32_e64 v8, 0, 1, vcc_lo
	v_cmp_ne_u32_e32 vcc_lo, 0, v12
	v_lshrrev_b32_e32 v13, 16, v13
	v_and_or_b32 v8, 0xffe, v10, v8
	v_cndmask_b32_e64 v12, 0, 1, vcc_lo
	v_sub_nc_u32_e32 v10, 0x3f1, v16
	v_add_nc_u32_e32 v16, 0xfffffc10, v16
	v_and_or_b32 v12, 0xffe, v15, v12
	v_med3_i32 v15, v17, 0, 13
	v_or_b32_e32 v17, 0x1000, v8
	v_med3_i32 v10, v10, 0, 13
	v_or_b32_e32 v18, 0x1000, v12
	v_lshrrev_b32_e32 v19, v15, v17
	v_lshrrev_b32_e32 v20, v10, v18
	v_lshlrev_b32_e32 v15, v15, v19
	v_lshlrev_b32_e32 v10, v10, v20
	v_cmp_ne_u32_e32 vcc_lo, v15, v17
	v_lshl_or_b32 v17, v14, 12, v8
	v_cndmask_b32_e64 v15, 0, 1, vcc_lo
	v_cmp_ne_u32_e32 vcc_lo, v10, v18
	v_lshl_or_b32 v18, v16, 12, v12
	v_or_b32_e32 v15, v19, v15
	v_cndmask_b32_e64 v10, 0, 1, vcc_lo
	v_cmp_gt_i32_e32 vcc_lo, 1, v14
	v_or_b32_e32 v10, v20, v10
	v_cndmask_b32_e32 v15, v17, v15, vcc_lo
	v_cmp_gt_i32_e32 vcc_lo, 1, v16
	v_and_b32_e32 v17, 7, v15
	v_cndmask_b32_e32 v10, v18, v10, vcc_lo
	v_cmp_ne_u32_e32 vcc_lo, 0, v8
	v_lshrrev_b32_e32 v15, 2, v15
	v_cmp_eq_u32_e64 s0, 3, v17
	v_and_b32_e32 v18, 7, v10
	v_cndmask_b32_e64 v8, 0, 1, vcc_lo
	v_cmp_ne_u32_e32 vcc_lo, 0, v12
	v_lshrrev_b32_e32 v10, 2, v10
	v_cmp_lt_i32_e64 s1, 5, v18
	v_cmp_eq_u32_e64 s2, 3, v18
	v_cndmask_b32_e64 v12, 0, 1, vcc_lo
	v_cmp_lt_i32_e32 vcc_lo, 5, v17
	v_lshl_or_b32 v8, v8, 9, 0x7c00
	v_lshl_or_b32 v12, v12, 9, 0x7c00
	s_or_b32 vcc_lo, s0, vcc_lo
	v_add_co_ci_u32_e32 v15, vcc_lo, 0, v15, vcc_lo
	s_or_b32 vcc_lo, s2, s1
	v_add_co_ci_u32_e32 v10, vcc_lo, 0, v10, vcc_lo
	v_cmp_gt_i32_e32 vcc_lo, 31, v14
	v_cndmask_b32_e32 v15, 0x7c00, v15, vcc_lo
	v_cmp_gt_i32_e32 vcc_lo, 31, v16
	v_cndmask_b32_e32 v10, 0x7c00, v10, vcc_lo
	v_cmp_eq_u32_e32 vcc_lo, 0x40f, v14
	v_cndmask_b32_e32 v8, v15, v8, vcc_lo
	v_cmp_eq_u32_e32 vcc_lo, 0x40f, v16
	v_and_or_b32 v8, 0x8000, v11, v8
	v_cndmask_b32_e32 v10, v10, v12, vcc_lo
	v_add_co_u32 v4, vcc_lo, v4, s6
	v_add_co_ci_u32_e32 v5, vcc_lo, s3, v5, vcc_lo
	v_and_or_b32 v10, 0x8000, v13, v10
	v_and_b32_e32 v8, 0xffff, v8
	v_lshl_or_b32 v8, v10, 16, v8
	v_lshrrev_b32_e32 v10, 16, v9
	global_store_dword v[4:5], v8, off
	global_load_dword v8, v[6:7], off offset:832
	s_waitcnt vmcnt(0)
	v_mul_f16_sdwa v11, v10, v8 dst_sel:DWORD dst_unused:UNUSED_PAD src0_sel:DWORD src1_sel:WORD_1
	v_mul_f16_sdwa v12, v9, v8 dst_sel:DWORD dst_unused:UNUSED_PAD src0_sel:DWORD src1_sel:WORD_1
	v_fmac_f16_e32 v11, v9, v8
	v_fma_f16 v8, v8, v10, -v12
	v_cvt_f32_f16_e32 v9, v11
	v_cvt_f32_f16_e32 v10, v8
	v_cvt_f64_f32_e32 v[8:9], v9
	v_cvt_f64_f32_e32 v[10:11], v10
	v_mul_f64 v[8:9], v[8:9], s[8:9]
	v_mul_f64 v[10:11], v[10:11], s[8:9]
	v_and_or_b32 v8, 0x1ff, v9, v8
	v_and_or_b32 v10, 0x1ff, v11, v10
	v_lshrrev_b32_e32 v12, 8, v9
	v_bfe_u32 v13, v9, 20, 11
	v_lshrrev_b32_e32 v14, 8, v11
	v_cmp_ne_u32_e32 vcc_lo, 0, v8
	v_bfe_u32 v15, v11, 20, 11
	v_lshrrev_b32_e32 v9, 16, v9
	v_sub_nc_u32_e32 v16, 0x3f1, v13
	v_add_nc_u32_e32 v13, 0xfffffc10, v13
	v_cndmask_b32_e64 v8, 0, 1, vcc_lo
	v_cmp_ne_u32_e32 vcc_lo, 0, v10
	v_lshrrev_b32_e32 v11, 16, v11
	v_and_or_b32 v8, 0xffe, v12, v8
	v_cndmask_b32_e64 v10, 0, 1, vcc_lo
	v_sub_nc_u32_e32 v12, 0x3f1, v15
	v_add_nc_u32_e32 v15, 0xfffffc10, v15
	v_and_or_b32 v10, 0xffe, v14, v10
	v_med3_i32 v14, v16, 0, 13
	v_or_b32_e32 v16, 0x1000, v8
	v_med3_i32 v12, v12, 0, 13
	v_or_b32_e32 v17, 0x1000, v10
	v_lshrrev_b32_e32 v18, v14, v16
	v_lshrrev_b32_e32 v19, v12, v17
	v_lshlrev_b32_e32 v14, v14, v18
	v_lshlrev_b32_e32 v12, v12, v19
	v_cmp_ne_u32_e32 vcc_lo, v14, v16
	v_lshl_or_b32 v16, v13, 12, v8
	v_cndmask_b32_e64 v14, 0, 1, vcc_lo
	v_cmp_ne_u32_e32 vcc_lo, v12, v17
	v_lshl_or_b32 v17, v15, 12, v10
	v_or_b32_e32 v14, v18, v14
	v_cndmask_b32_e64 v12, 0, 1, vcc_lo
	v_cmp_gt_i32_e32 vcc_lo, 1, v13
	v_or_b32_e32 v12, v19, v12
	v_cndmask_b32_e32 v14, v16, v14, vcc_lo
	v_cmp_gt_i32_e32 vcc_lo, 1, v15
	v_and_b32_e32 v16, 7, v14
	v_cndmask_b32_e32 v12, v17, v12, vcc_lo
	v_cmp_ne_u32_e32 vcc_lo, 0, v8
	v_lshrrev_b32_e32 v14, 2, v14
	v_cmp_eq_u32_e64 s0, 3, v16
	v_and_b32_e32 v17, 7, v12
	v_cndmask_b32_e64 v8, 0, 1, vcc_lo
	v_cmp_ne_u32_e32 vcc_lo, 0, v10
	v_lshrrev_b32_e32 v12, 2, v12
	v_cmp_lt_i32_e64 s1, 5, v17
	v_cmp_eq_u32_e64 s2, 3, v17
	v_cndmask_b32_e64 v10, 0, 1, vcc_lo
	v_cmp_lt_i32_e32 vcc_lo, 5, v16
	v_lshl_or_b32 v8, v8, 9, 0x7c00
	v_lshl_or_b32 v10, v10, 9, 0x7c00
	s_or_b32 vcc_lo, s0, vcc_lo
	v_add_co_ci_u32_e32 v14, vcc_lo, 0, v14, vcc_lo
	s_or_b32 vcc_lo, s2, s1
	v_add_co_ci_u32_e32 v12, vcc_lo, 0, v12, vcc_lo
	v_cmp_gt_i32_e32 vcc_lo, 31, v13
	v_cndmask_b32_e32 v14, 0x7c00, v14, vcc_lo
	v_cmp_gt_i32_e32 vcc_lo, 31, v15
	v_cndmask_b32_e32 v12, 0x7c00, v12, vcc_lo
	v_cmp_eq_u32_e32 vcc_lo, 0x40f, v13
	v_cndmask_b32_e32 v8, v14, v8, vcc_lo
	v_cmp_eq_u32_e32 vcc_lo, 0x40f, v15
	v_and_or_b32 v8, 0x8000, v9, v8
	v_cndmask_b32_e32 v10, v12, v10, vcc_lo
	v_add_co_u32 v4, vcc_lo, v4, s6
	v_add_co_ci_u32_e32 v5, vcc_lo, s3, v5, vcc_lo
	v_and_or_b32 v9, 0x8000, v11, v10
	v_and_b32_e32 v8, 0xffff, v8
	v_lshl_or_b32 v8, v9, 16, v8
	global_store_dword v[4:5], v8, off
	global_load_dword v10, v[6:7], off offset:1312
	v_add_nc_u32_e32 v8, 0xc00, v59
	ds_read2_b32 v[8:9], v8 offset0:72 offset1:192
	s_waitcnt lgkmcnt(0)
	v_lshrrev_b32_e32 v11, 16, v8
	s_waitcnt vmcnt(0)
	v_mul_f16_sdwa v12, v11, v10 dst_sel:DWORD dst_unused:UNUSED_PAD src0_sel:DWORD src1_sel:WORD_1
	v_mul_f16_sdwa v13, v8, v10 dst_sel:DWORD dst_unused:UNUSED_PAD src0_sel:DWORD src1_sel:WORD_1
	v_fmac_f16_e32 v12, v8, v10
	v_fma_f16 v8, v10, v11, -v13
	v_cvt_f32_f16_e32 v10, v12
	v_cvt_f32_f16_e32 v8, v8
	v_cvt_f64_f32_e32 v[10:11], v10
	v_cvt_f64_f32_e32 v[12:13], v8
	v_mul_f64 v[10:11], v[10:11], s[8:9]
	v_mul_f64 v[12:13], v[12:13], s[8:9]
	v_and_or_b32 v8, 0x1ff, v11, v10
	v_and_or_b32 v12, 0x1ff, v13, v12
	v_lshrrev_b32_e32 v10, 8, v11
	v_bfe_u32 v14, v11, 20, 11
	v_lshrrev_b32_e32 v15, 8, v13
	v_cmp_ne_u32_e32 vcc_lo, 0, v8
	v_bfe_u32 v16, v13, 20, 11
	v_lshrrev_b32_e32 v11, 16, v11
	v_sub_nc_u32_e32 v17, 0x3f1, v14
	v_add_nc_u32_e32 v14, 0xfffffc10, v14
	v_cndmask_b32_e64 v8, 0, 1, vcc_lo
	v_cmp_ne_u32_e32 vcc_lo, 0, v12
	v_lshrrev_b32_e32 v13, 16, v13
	v_and_or_b32 v8, 0xffe, v10, v8
	v_cndmask_b32_e64 v12, 0, 1, vcc_lo
	v_sub_nc_u32_e32 v10, 0x3f1, v16
	v_add_nc_u32_e32 v16, 0xfffffc10, v16
	v_and_or_b32 v12, 0xffe, v15, v12
	v_med3_i32 v15, v17, 0, 13
	v_or_b32_e32 v17, 0x1000, v8
	v_med3_i32 v10, v10, 0, 13
	v_or_b32_e32 v18, 0x1000, v12
	v_lshrrev_b32_e32 v19, v15, v17
	v_lshrrev_b32_e32 v20, v10, v18
	v_lshlrev_b32_e32 v15, v15, v19
	v_lshlrev_b32_e32 v10, v10, v20
	v_cmp_ne_u32_e32 vcc_lo, v15, v17
	v_lshl_or_b32 v17, v14, 12, v8
	v_cndmask_b32_e64 v15, 0, 1, vcc_lo
	v_cmp_ne_u32_e32 vcc_lo, v10, v18
	v_lshl_or_b32 v18, v16, 12, v12
	v_or_b32_e32 v15, v19, v15
	v_cndmask_b32_e64 v10, 0, 1, vcc_lo
	v_cmp_gt_i32_e32 vcc_lo, 1, v14
	v_or_b32_e32 v10, v20, v10
	v_cndmask_b32_e32 v15, v17, v15, vcc_lo
	v_cmp_gt_i32_e32 vcc_lo, 1, v16
	v_and_b32_e32 v17, 7, v15
	v_cndmask_b32_e32 v10, v18, v10, vcc_lo
	v_cmp_ne_u32_e32 vcc_lo, 0, v8
	v_lshrrev_b32_e32 v15, 2, v15
	v_cmp_eq_u32_e64 s0, 3, v17
	v_and_b32_e32 v18, 7, v10
	v_cndmask_b32_e64 v8, 0, 1, vcc_lo
	v_cmp_ne_u32_e32 vcc_lo, 0, v12
	v_lshrrev_b32_e32 v10, 2, v10
	v_cmp_lt_i32_e64 s1, 5, v18
	v_cmp_eq_u32_e64 s2, 3, v18
	v_cndmask_b32_e64 v12, 0, 1, vcc_lo
	v_cmp_lt_i32_e32 vcc_lo, 5, v17
	v_lshl_or_b32 v8, v8, 9, 0x7c00
	v_lshl_or_b32 v12, v12, 9, 0x7c00
	s_or_b32 vcc_lo, s0, vcc_lo
	v_add_co_ci_u32_e32 v15, vcc_lo, 0, v15, vcc_lo
	s_or_b32 vcc_lo, s2, s1
	v_add_co_ci_u32_e32 v10, vcc_lo, 0, v10, vcc_lo
	v_cmp_gt_i32_e32 vcc_lo, 31, v14
	v_cndmask_b32_e32 v15, 0x7c00, v15, vcc_lo
	v_cmp_gt_i32_e32 vcc_lo, 31, v16
	v_cndmask_b32_e32 v10, 0x7c00, v10, vcc_lo
	v_cmp_eq_u32_e32 vcc_lo, 0x40f, v14
	v_cndmask_b32_e32 v8, v15, v8, vcc_lo
	v_cmp_eq_u32_e32 vcc_lo, 0x40f, v16
	v_and_or_b32 v8, 0x8000, v11, v8
	v_cndmask_b32_e32 v10, v10, v12, vcc_lo
	v_add_co_u32 v4, vcc_lo, v4, s6
	v_add_co_ci_u32_e32 v5, vcc_lo, s3, v5, vcc_lo
	v_and_or_b32 v10, 0x8000, v13, v10
	v_and_b32_e32 v8, 0xffff, v8
	v_lshl_or_b32 v8, v10, 16, v8
	global_store_dword v[4:5], v8, off
	global_load_dword v6, v[6:7], off offset:1792
	v_lshrrev_b32_e32 v7, 16, v9
	s_waitcnt vmcnt(0)
	v_mul_f16_sdwa v8, v7, v6 dst_sel:DWORD dst_unused:UNUSED_PAD src0_sel:DWORD src1_sel:WORD_1
	v_mul_f16_sdwa v10, v9, v6 dst_sel:DWORD dst_unused:UNUSED_PAD src0_sel:DWORD src1_sel:WORD_1
	v_fmac_f16_e32 v8, v9, v6
	v_fma_f16 v6, v6, v7, -v10
	v_cvt_f32_f16_e32 v7, v8
	v_cvt_f32_f16_e32 v8, v6
	v_cvt_f64_f32_e32 v[6:7], v7
	v_cvt_f64_f32_e32 v[8:9], v8
	v_mul_f64 v[6:7], v[6:7], s[8:9]
	v_mul_f64 v[8:9], v[8:9], s[8:9]
	v_and_or_b32 v6, 0x1ff, v7, v6
	v_and_or_b32 v8, 0x1ff, v9, v8
	v_lshrrev_b32_e32 v10, 8, v7
	v_bfe_u32 v11, v7, 20, 11
	v_lshrrev_b32_e32 v12, 8, v9
	v_cmp_ne_u32_e32 vcc_lo, 0, v6
	v_bfe_u32 v13, v9, 20, 11
	v_lshrrev_b32_e32 v7, 16, v7
	v_sub_nc_u32_e32 v14, 0x3f1, v11
	v_add_nc_u32_e32 v11, 0xfffffc10, v11
	v_cndmask_b32_e64 v6, 0, 1, vcc_lo
	v_cmp_ne_u32_e32 vcc_lo, 0, v8
	v_lshrrev_b32_e32 v9, 16, v9
	v_and_or_b32 v6, 0xffe, v10, v6
	v_cndmask_b32_e64 v8, 0, 1, vcc_lo
	v_sub_nc_u32_e32 v10, 0x3f1, v13
	v_add_nc_u32_e32 v13, 0xfffffc10, v13
	v_and_or_b32 v8, 0xffe, v12, v8
	v_med3_i32 v12, v14, 0, 13
	v_or_b32_e32 v14, 0x1000, v6
	v_med3_i32 v10, v10, 0, 13
	v_or_b32_e32 v15, 0x1000, v8
	v_lshrrev_b32_e32 v16, v12, v14
	v_lshrrev_b32_e32 v17, v10, v15
	v_lshlrev_b32_e32 v12, v12, v16
	v_lshlrev_b32_e32 v10, v10, v17
	v_cmp_ne_u32_e32 vcc_lo, v12, v14
	v_lshl_or_b32 v14, v11, 12, v6
	v_cndmask_b32_e64 v12, 0, 1, vcc_lo
	v_cmp_ne_u32_e32 vcc_lo, v10, v15
	v_lshl_or_b32 v15, v13, 12, v8
	v_or_b32_e32 v12, v16, v12
	v_cndmask_b32_e64 v10, 0, 1, vcc_lo
	v_cmp_gt_i32_e32 vcc_lo, 1, v11
	v_or_b32_e32 v10, v17, v10
	v_cndmask_b32_e32 v12, v14, v12, vcc_lo
	v_cmp_gt_i32_e32 vcc_lo, 1, v13
	v_and_b32_e32 v14, 7, v12
	v_cndmask_b32_e32 v10, v15, v10, vcc_lo
	v_cmp_ne_u32_e32 vcc_lo, 0, v6
	v_lshrrev_b32_e32 v12, 2, v12
	v_cmp_eq_u32_e64 s0, 3, v14
	v_and_b32_e32 v15, 7, v10
	v_cndmask_b32_e64 v6, 0, 1, vcc_lo
	v_cmp_ne_u32_e32 vcc_lo, 0, v8
	v_lshrrev_b32_e32 v10, 2, v10
	v_cmp_lt_i32_e64 s1, 5, v15
	v_cmp_eq_u32_e64 s2, 3, v15
	v_cndmask_b32_e64 v8, 0, 1, vcc_lo
	v_cmp_lt_i32_e32 vcc_lo, 5, v14
	v_lshl_or_b32 v6, v6, 9, 0x7c00
	v_lshl_or_b32 v8, v8, 9, 0x7c00
	s_or_b32 vcc_lo, s0, vcc_lo
	v_add_co_ci_u32_e32 v12, vcc_lo, 0, v12, vcc_lo
	s_or_b32 vcc_lo, s2, s1
	v_add_co_ci_u32_e32 v10, vcc_lo, 0, v10, vcc_lo
	v_cmp_gt_i32_e32 vcc_lo, 31, v11
	v_cndmask_b32_e32 v12, 0x7c00, v12, vcc_lo
	v_cmp_gt_i32_e32 vcc_lo, 31, v13
	v_cndmask_b32_e32 v10, 0x7c00, v10, vcc_lo
	v_cmp_eq_u32_e32 vcc_lo, 0x40f, v11
	v_cndmask_b32_e32 v6, v12, v6, vcc_lo
	v_cmp_eq_u32_e32 vcc_lo, 0x40f, v13
	v_and_or_b32 v6, 0x8000, v7, v6
	v_cndmask_b32_e32 v8, v10, v8, vcc_lo
	v_add_co_u32 v4, vcc_lo, v4, s6
	v_add_co_ci_u32_e32 v5, vcc_lo, s3, v5, vcc_lo
	v_and_or_b32 v7, 0x8000, v9, v8
	v_and_b32_e32 v6, 0xffff, v6
	v_lshl_or_b32 v8, v7, 16, v6
	v_add_co_u32 v6, vcc_lo, 0x1000, v2
	v_add_co_ci_u32_e32 v7, vcc_lo, 0, v3, vcc_lo
	global_store_dword v[4:5], v8, off
	v_add_nc_u32_e32 v8, 0x1000, v59
	global_load_dword v10, v[6:7], off offset:224
	ds_read2_b32 v[8:9], v8 offset0:56 offset1:176
	s_waitcnt lgkmcnt(0)
	v_lshrrev_b32_e32 v11, 16, v8
	s_waitcnt vmcnt(0)
	v_mul_f16_sdwa v12, v11, v10 dst_sel:DWORD dst_unused:UNUSED_PAD src0_sel:DWORD src1_sel:WORD_1
	v_mul_f16_sdwa v13, v8, v10 dst_sel:DWORD dst_unused:UNUSED_PAD src0_sel:DWORD src1_sel:WORD_1
	v_fmac_f16_e32 v12, v8, v10
	v_fma_f16 v8, v10, v11, -v13
	v_cvt_f32_f16_e32 v10, v12
	v_cvt_f32_f16_e32 v8, v8
	v_cvt_f64_f32_e32 v[10:11], v10
	v_cvt_f64_f32_e32 v[12:13], v8
	v_mul_f64 v[10:11], v[10:11], s[8:9]
	v_mul_f64 v[12:13], v[12:13], s[8:9]
	v_and_or_b32 v8, 0x1ff, v11, v10
	v_and_or_b32 v12, 0x1ff, v13, v12
	v_lshrrev_b32_e32 v10, 8, v11
	v_bfe_u32 v14, v11, 20, 11
	v_lshrrev_b32_e32 v15, 8, v13
	v_cmp_ne_u32_e32 vcc_lo, 0, v8
	v_bfe_u32 v16, v13, 20, 11
	v_lshrrev_b32_e32 v11, 16, v11
	v_sub_nc_u32_e32 v17, 0x3f1, v14
	v_add_nc_u32_e32 v14, 0xfffffc10, v14
	v_cndmask_b32_e64 v8, 0, 1, vcc_lo
	v_cmp_ne_u32_e32 vcc_lo, 0, v12
	v_lshrrev_b32_e32 v13, 16, v13
	v_and_or_b32 v8, 0xffe, v10, v8
	v_cndmask_b32_e64 v12, 0, 1, vcc_lo
	v_sub_nc_u32_e32 v10, 0x3f1, v16
	v_add_nc_u32_e32 v16, 0xfffffc10, v16
	v_and_or_b32 v12, 0xffe, v15, v12
	v_med3_i32 v15, v17, 0, 13
	v_or_b32_e32 v17, 0x1000, v8
	v_med3_i32 v10, v10, 0, 13
	v_or_b32_e32 v18, 0x1000, v12
	v_lshrrev_b32_e32 v19, v15, v17
	v_lshrrev_b32_e32 v20, v10, v18
	v_lshlrev_b32_e32 v15, v15, v19
	v_lshlrev_b32_e32 v10, v10, v20
	v_cmp_ne_u32_e32 vcc_lo, v15, v17
	v_lshl_or_b32 v17, v14, 12, v8
	v_cndmask_b32_e64 v15, 0, 1, vcc_lo
	v_cmp_ne_u32_e32 vcc_lo, v10, v18
	v_lshl_or_b32 v18, v16, 12, v12
	v_or_b32_e32 v15, v19, v15
	v_cndmask_b32_e64 v10, 0, 1, vcc_lo
	v_cmp_gt_i32_e32 vcc_lo, 1, v14
	v_or_b32_e32 v10, v20, v10
	v_cndmask_b32_e32 v15, v17, v15, vcc_lo
	v_cmp_gt_i32_e32 vcc_lo, 1, v16
	v_and_b32_e32 v17, 7, v15
	v_cndmask_b32_e32 v10, v18, v10, vcc_lo
	v_cmp_ne_u32_e32 vcc_lo, 0, v8
	v_lshrrev_b32_e32 v15, 2, v15
	v_cmp_eq_u32_e64 s0, 3, v17
	v_and_b32_e32 v18, 7, v10
	v_cndmask_b32_e64 v8, 0, 1, vcc_lo
	v_cmp_ne_u32_e32 vcc_lo, 0, v12
	v_lshrrev_b32_e32 v10, 2, v10
	v_cmp_lt_i32_e64 s1, 5, v18
	v_cmp_eq_u32_e64 s2, 3, v18
	v_cndmask_b32_e64 v12, 0, 1, vcc_lo
	v_cmp_lt_i32_e32 vcc_lo, 5, v17
	v_lshl_or_b32 v8, v8, 9, 0x7c00
	v_lshl_or_b32 v12, v12, 9, 0x7c00
	s_or_b32 vcc_lo, s0, vcc_lo
	v_add_co_ci_u32_e32 v15, vcc_lo, 0, v15, vcc_lo
	s_or_b32 vcc_lo, s2, s1
	v_add_co_ci_u32_e32 v10, vcc_lo, 0, v10, vcc_lo
	v_cmp_gt_i32_e32 vcc_lo, 31, v14
	v_cndmask_b32_e32 v15, 0x7c00, v15, vcc_lo
	v_cmp_gt_i32_e32 vcc_lo, 31, v16
	v_cndmask_b32_e32 v10, 0x7c00, v10, vcc_lo
	v_cmp_eq_u32_e32 vcc_lo, 0x40f, v14
	v_cndmask_b32_e32 v8, v15, v8, vcc_lo
	v_cmp_eq_u32_e32 vcc_lo, 0x40f, v16
	v_and_or_b32 v8, 0x8000, v11, v8
	v_cndmask_b32_e32 v10, v10, v12, vcc_lo
	v_add_co_u32 v4, vcc_lo, v4, s6
	v_add_co_ci_u32_e32 v5, vcc_lo, s3, v5, vcc_lo
	v_and_or_b32 v10, 0x8000, v13, v10
	v_and_b32_e32 v8, 0xffff, v8
	v_lshl_or_b32 v8, v10, 16, v8
	v_lshrrev_b32_e32 v10, 16, v9
	global_store_dword v[4:5], v8, off
	global_load_dword v8, v[6:7], off offset:704
	s_waitcnt vmcnt(0)
	v_mul_f16_sdwa v11, v10, v8 dst_sel:DWORD dst_unused:UNUSED_PAD src0_sel:DWORD src1_sel:WORD_1
	v_mul_f16_sdwa v12, v9, v8 dst_sel:DWORD dst_unused:UNUSED_PAD src0_sel:DWORD src1_sel:WORD_1
	v_fmac_f16_e32 v11, v9, v8
	v_fma_f16 v8, v8, v10, -v12
	v_cvt_f32_f16_e32 v9, v11
	v_cvt_f32_f16_e32 v10, v8
	v_cvt_f64_f32_e32 v[8:9], v9
	v_cvt_f64_f32_e32 v[10:11], v10
	v_mul_f64 v[8:9], v[8:9], s[8:9]
	v_mul_f64 v[10:11], v[10:11], s[8:9]
	v_and_or_b32 v8, 0x1ff, v9, v8
	v_and_or_b32 v10, 0x1ff, v11, v10
	v_lshrrev_b32_e32 v12, 8, v9
	v_bfe_u32 v13, v9, 20, 11
	v_lshrrev_b32_e32 v14, 8, v11
	v_cmp_ne_u32_e32 vcc_lo, 0, v8
	v_bfe_u32 v15, v11, 20, 11
	v_lshrrev_b32_e32 v9, 16, v9
	v_sub_nc_u32_e32 v16, 0x3f1, v13
	v_add_nc_u32_e32 v13, 0xfffffc10, v13
	v_cndmask_b32_e64 v8, 0, 1, vcc_lo
	v_cmp_ne_u32_e32 vcc_lo, 0, v10
	v_lshrrev_b32_e32 v11, 16, v11
	v_and_or_b32 v8, 0xffe, v12, v8
	v_cndmask_b32_e64 v10, 0, 1, vcc_lo
	v_sub_nc_u32_e32 v12, 0x3f1, v15
	v_add_nc_u32_e32 v15, 0xfffffc10, v15
	v_and_or_b32 v10, 0xffe, v14, v10
	v_med3_i32 v14, v16, 0, 13
	v_or_b32_e32 v16, 0x1000, v8
	v_med3_i32 v12, v12, 0, 13
	v_or_b32_e32 v17, 0x1000, v10
	v_lshrrev_b32_e32 v18, v14, v16
	v_lshrrev_b32_e32 v19, v12, v17
	v_lshlrev_b32_e32 v14, v14, v18
	v_lshlrev_b32_e32 v12, v12, v19
	v_cmp_ne_u32_e32 vcc_lo, v14, v16
	v_lshl_or_b32 v16, v13, 12, v8
	v_cndmask_b32_e64 v14, 0, 1, vcc_lo
	v_cmp_ne_u32_e32 vcc_lo, v12, v17
	v_lshl_or_b32 v17, v15, 12, v10
	v_or_b32_e32 v14, v18, v14
	v_cndmask_b32_e64 v12, 0, 1, vcc_lo
	v_cmp_gt_i32_e32 vcc_lo, 1, v13
	v_or_b32_e32 v12, v19, v12
	v_cndmask_b32_e32 v14, v16, v14, vcc_lo
	v_cmp_gt_i32_e32 vcc_lo, 1, v15
	v_and_b32_e32 v16, 7, v14
	v_cndmask_b32_e32 v12, v17, v12, vcc_lo
	v_cmp_ne_u32_e32 vcc_lo, 0, v8
	v_lshrrev_b32_e32 v14, 2, v14
	v_cmp_eq_u32_e64 s0, 3, v16
	v_and_b32_e32 v17, 7, v12
	v_cndmask_b32_e64 v8, 0, 1, vcc_lo
	v_cmp_ne_u32_e32 vcc_lo, 0, v10
	v_lshrrev_b32_e32 v12, 2, v12
	v_cmp_lt_i32_e64 s1, 5, v17
	v_cmp_eq_u32_e64 s2, 3, v17
	v_cndmask_b32_e64 v10, 0, 1, vcc_lo
	v_cmp_lt_i32_e32 vcc_lo, 5, v16
	v_lshl_or_b32 v8, v8, 9, 0x7c00
	v_lshl_or_b32 v10, v10, 9, 0x7c00
	s_or_b32 vcc_lo, s0, vcc_lo
	v_add_co_ci_u32_e32 v14, vcc_lo, 0, v14, vcc_lo
	s_or_b32 vcc_lo, s2, s1
	v_add_co_ci_u32_e32 v12, vcc_lo, 0, v12, vcc_lo
	v_cmp_gt_i32_e32 vcc_lo, 31, v13
	v_cndmask_b32_e32 v14, 0x7c00, v14, vcc_lo
	v_cmp_gt_i32_e32 vcc_lo, 31, v15
	v_cndmask_b32_e32 v12, 0x7c00, v12, vcc_lo
	v_cmp_eq_u32_e32 vcc_lo, 0x40f, v13
	v_cndmask_b32_e32 v8, v14, v8, vcc_lo
	v_cmp_eq_u32_e32 vcc_lo, 0x40f, v15
	v_and_or_b32 v8, 0x8000, v9, v8
	v_cndmask_b32_e32 v10, v12, v10, vcc_lo
	v_add_co_u32 v4, vcc_lo, v4, s6
	v_add_co_ci_u32_e32 v5, vcc_lo, s3, v5, vcc_lo
	v_and_or_b32 v9, 0x8000, v11, v10
	v_and_b32_e32 v8, 0xffff, v8
	v_lshl_or_b32 v8, v9, 16, v8
	global_store_dword v[4:5], v8, off
	global_load_dword v10, v[6:7], off offset:1184
	v_add_nc_u32_e32 v8, 0x1400, v59
	ds_read2_b32 v[8:9], v8 offset0:40 offset1:160
	s_waitcnt lgkmcnt(0)
	v_lshrrev_b32_e32 v11, 16, v8
	s_waitcnt vmcnt(0)
	v_mul_f16_sdwa v12, v11, v10 dst_sel:DWORD dst_unused:UNUSED_PAD src0_sel:DWORD src1_sel:WORD_1
	v_mul_f16_sdwa v13, v8, v10 dst_sel:DWORD dst_unused:UNUSED_PAD src0_sel:DWORD src1_sel:WORD_1
	v_fmac_f16_e32 v12, v8, v10
	v_fma_f16 v8, v10, v11, -v13
	v_cvt_f32_f16_e32 v10, v12
	v_cvt_f32_f16_e32 v8, v8
	v_cvt_f64_f32_e32 v[10:11], v10
	v_cvt_f64_f32_e32 v[12:13], v8
	v_mul_f64 v[10:11], v[10:11], s[8:9]
	v_mul_f64 v[12:13], v[12:13], s[8:9]
	v_and_or_b32 v8, 0x1ff, v11, v10
	v_and_or_b32 v12, 0x1ff, v13, v12
	v_lshrrev_b32_e32 v10, 8, v11
	v_bfe_u32 v14, v11, 20, 11
	v_lshrrev_b32_e32 v15, 8, v13
	v_cmp_ne_u32_e32 vcc_lo, 0, v8
	v_bfe_u32 v16, v13, 20, 11
	v_lshrrev_b32_e32 v11, 16, v11
	v_sub_nc_u32_e32 v17, 0x3f1, v14
	v_add_nc_u32_e32 v14, 0xfffffc10, v14
	v_cndmask_b32_e64 v8, 0, 1, vcc_lo
	v_cmp_ne_u32_e32 vcc_lo, 0, v12
	v_lshrrev_b32_e32 v13, 16, v13
	v_and_or_b32 v8, 0xffe, v10, v8
	v_cndmask_b32_e64 v12, 0, 1, vcc_lo
	v_sub_nc_u32_e32 v10, 0x3f1, v16
	v_add_nc_u32_e32 v16, 0xfffffc10, v16
	v_and_or_b32 v12, 0xffe, v15, v12
	v_med3_i32 v15, v17, 0, 13
	v_or_b32_e32 v17, 0x1000, v8
	v_med3_i32 v10, v10, 0, 13
	v_or_b32_e32 v18, 0x1000, v12
	v_lshrrev_b32_e32 v19, v15, v17
	v_lshrrev_b32_e32 v20, v10, v18
	v_lshlrev_b32_e32 v15, v15, v19
	v_lshlrev_b32_e32 v10, v10, v20
	v_cmp_ne_u32_e32 vcc_lo, v15, v17
	v_lshl_or_b32 v17, v14, 12, v8
	v_cndmask_b32_e64 v15, 0, 1, vcc_lo
	v_cmp_ne_u32_e32 vcc_lo, v10, v18
	v_lshl_or_b32 v18, v16, 12, v12
	v_or_b32_e32 v15, v19, v15
	v_cndmask_b32_e64 v10, 0, 1, vcc_lo
	v_cmp_gt_i32_e32 vcc_lo, 1, v14
	v_or_b32_e32 v10, v20, v10
	v_cndmask_b32_e32 v15, v17, v15, vcc_lo
	v_cmp_gt_i32_e32 vcc_lo, 1, v16
	v_and_b32_e32 v17, 7, v15
	v_cndmask_b32_e32 v10, v18, v10, vcc_lo
	v_cmp_ne_u32_e32 vcc_lo, 0, v8
	v_lshrrev_b32_e32 v15, 2, v15
	v_cmp_eq_u32_e64 s0, 3, v17
	v_and_b32_e32 v18, 7, v10
	v_cndmask_b32_e64 v8, 0, 1, vcc_lo
	v_cmp_ne_u32_e32 vcc_lo, 0, v12
	v_lshrrev_b32_e32 v10, 2, v10
	v_cmp_lt_i32_e64 s1, 5, v18
	v_cmp_eq_u32_e64 s2, 3, v18
	v_cndmask_b32_e64 v12, 0, 1, vcc_lo
	v_cmp_lt_i32_e32 vcc_lo, 5, v17
	v_lshl_or_b32 v8, v8, 9, 0x7c00
	v_lshl_or_b32 v12, v12, 9, 0x7c00
	s_or_b32 vcc_lo, s0, vcc_lo
	v_add_co_ci_u32_e32 v15, vcc_lo, 0, v15, vcc_lo
	s_or_b32 vcc_lo, s2, s1
	v_add_co_ci_u32_e32 v10, vcc_lo, 0, v10, vcc_lo
	v_cmp_gt_i32_e32 vcc_lo, 31, v14
	v_cndmask_b32_e32 v15, 0x7c00, v15, vcc_lo
	v_cmp_gt_i32_e32 vcc_lo, 31, v16
	v_cndmask_b32_e32 v10, 0x7c00, v10, vcc_lo
	v_cmp_eq_u32_e32 vcc_lo, 0x40f, v14
	v_cndmask_b32_e32 v8, v15, v8, vcc_lo
	v_cmp_eq_u32_e32 vcc_lo, 0x40f, v16
	v_and_or_b32 v8, 0x8000, v11, v8
	v_cndmask_b32_e32 v10, v10, v12, vcc_lo
	v_add_co_u32 v4, vcc_lo, v4, s6
	v_add_co_ci_u32_e32 v5, vcc_lo, s3, v5, vcc_lo
	v_and_or_b32 v10, 0x8000, v13, v10
	v_and_b32_e32 v8, 0xffff, v8
	v_lshl_or_b32 v8, v10, 16, v8
	global_store_dword v[4:5], v8, off
	global_load_dword v6, v[6:7], off offset:1664
	v_lshrrev_b32_e32 v7, 16, v9
	s_waitcnt vmcnt(0)
	v_mul_f16_sdwa v8, v7, v6 dst_sel:DWORD dst_unused:UNUSED_PAD src0_sel:DWORD src1_sel:WORD_1
	v_mul_f16_sdwa v10, v9, v6 dst_sel:DWORD dst_unused:UNUSED_PAD src0_sel:DWORD src1_sel:WORD_1
	v_fmac_f16_e32 v8, v9, v6
	v_fma_f16 v6, v6, v7, -v10
	v_cvt_f32_f16_e32 v7, v8
	v_cvt_f32_f16_e32 v8, v6
	v_cvt_f64_f32_e32 v[6:7], v7
	v_cvt_f64_f32_e32 v[8:9], v8
	v_mul_f64 v[6:7], v[6:7], s[8:9]
	v_mul_f64 v[8:9], v[8:9], s[8:9]
	v_and_or_b32 v6, 0x1ff, v7, v6
	v_and_or_b32 v8, 0x1ff, v9, v8
	v_lshrrev_b32_e32 v10, 8, v7
	v_bfe_u32 v11, v7, 20, 11
	v_lshrrev_b32_e32 v12, 8, v9
	v_cmp_ne_u32_e32 vcc_lo, 0, v6
	v_bfe_u32 v13, v9, 20, 11
	v_lshrrev_b32_e32 v7, 16, v7
	v_sub_nc_u32_e32 v14, 0x3f1, v11
	v_add_nc_u32_e32 v11, 0xfffffc10, v11
	v_cndmask_b32_e64 v6, 0, 1, vcc_lo
	v_cmp_ne_u32_e32 vcc_lo, 0, v8
	v_lshrrev_b32_e32 v9, 16, v9
	v_and_or_b32 v6, 0xffe, v10, v6
	v_cndmask_b32_e64 v8, 0, 1, vcc_lo
	v_sub_nc_u32_e32 v10, 0x3f1, v13
	v_add_nc_u32_e32 v13, 0xfffffc10, v13
	v_and_or_b32 v8, 0xffe, v12, v8
	v_med3_i32 v12, v14, 0, 13
	v_or_b32_e32 v14, 0x1000, v6
	v_med3_i32 v10, v10, 0, 13
	v_or_b32_e32 v15, 0x1000, v8
	v_lshrrev_b32_e32 v16, v12, v14
	v_lshrrev_b32_e32 v17, v10, v15
	v_lshlrev_b32_e32 v12, v12, v16
	v_lshlrev_b32_e32 v10, v10, v17
	v_cmp_ne_u32_e32 vcc_lo, v12, v14
	v_lshl_or_b32 v14, v11, 12, v6
	v_cndmask_b32_e64 v12, 0, 1, vcc_lo
	v_cmp_ne_u32_e32 vcc_lo, v10, v15
	v_lshl_or_b32 v15, v13, 12, v8
	v_or_b32_e32 v12, v16, v12
	v_cndmask_b32_e64 v10, 0, 1, vcc_lo
	v_cmp_gt_i32_e32 vcc_lo, 1, v11
	v_or_b32_e32 v10, v17, v10
	v_cndmask_b32_e32 v12, v14, v12, vcc_lo
	v_cmp_gt_i32_e32 vcc_lo, 1, v13
	v_and_b32_e32 v14, 7, v12
	v_cndmask_b32_e32 v10, v15, v10, vcc_lo
	v_cmp_ne_u32_e32 vcc_lo, 0, v6
	v_lshrrev_b32_e32 v12, 2, v12
	v_cmp_eq_u32_e64 s0, 3, v14
	v_and_b32_e32 v15, 7, v10
	v_cndmask_b32_e64 v6, 0, 1, vcc_lo
	v_cmp_ne_u32_e32 vcc_lo, 0, v8
	v_lshrrev_b32_e32 v10, 2, v10
	v_cmp_lt_i32_e64 s1, 5, v15
	v_cmp_eq_u32_e64 s2, 3, v15
	v_cndmask_b32_e64 v8, 0, 1, vcc_lo
	v_cmp_lt_i32_e32 vcc_lo, 5, v14
	v_lshl_or_b32 v6, v6, 9, 0x7c00
	v_lshl_or_b32 v8, v8, 9, 0x7c00
	s_or_b32 vcc_lo, s0, vcc_lo
	v_add_co_ci_u32_e32 v12, vcc_lo, 0, v12, vcc_lo
	s_or_b32 vcc_lo, s2, s1
	v_add_co_ci_u32_e32 v10, vcc_lo, 0, v10, vcc_lo
	v_cmp_gt_i32_e32 vcc_lo, 31, v11
	v_cndmask_b32_e32 v12, 0x7c00, v12, vcc_lo
	v_cmp_gt_i32_e32 vcc_lo, 31, v13
	v_cndmask_b32_e32 v10, 0x7c00, v10, vcc_lo
	v_cmp_eq_u32_e32 vcc_lo, 0x40f, v11
	v_cndmask_b32_e32 v6, v12, v6, vcc_lo
	v_cmp_eq_u32_e32 vcc_lo, 0x40f, v13
	v_and_or_b32 v6, 0x8000, v7, v6
	v_cndmask_b32_e32 v8, v10, v8, vcc_lo
	v_add_co_u32 v4, vcc_lo, v4, s6
	v_add_co_ci_u32_e32 v5, vcc_lo, s3, v5, vcc_lo
	v_and_or_b32 v7, 0x8000, v9, v8
	v_and_b32_e32 v6, 0xffff, v6
	v_add_co_u32 v2, vcc_lo, 0x1800, v2
	v_add_co_ci_u32_e32 v3, vcc_lo, 0, v3, vcc_lo
	v_lshl_or_b32 v6, v7, 16, v6
	global_store_dword v[4:5], v6, off
	global_load_dword v8, v[2:3], off offset:96
	v_add_nc_u32_e32 v6, 0x1800, v59
	ds_read2_b32 v[6:7], v6 offset0:24 offset1:144
	s_waitcnt lgkmcnt(0)
	v_lshrrev_b32_e32 v9, 16, v6
	s_waitcnt vmcnt(0)
	v_mul_f16_sdwa v10, v9, v8 dst_sel:DWORD dst_unused:UNUSED_PAD src0_sel:DWORD src1_sel:WORD_1
	v_mul_f16_sdwa v11, v6, v8 dst_sel:DWORD dst_unused:UNUSED_PAD src0_sel:DWORD src1_sel:WORD_1
	v_fmac_f16_e32 v10, v6, v8
	v_fma_f16 v6, v8, v9, -v11
	v_cvt_f32_f16_e32 v8, v10
	v_cvt_f32_f16_e32 v6, v6
	v_cvt_f64_f32_e32 v[8:9], v8
	v_cvt_f64_f32_e32 v[10:11], v6
	v_mul_f64 v[8:9], v[8:9], s[8:9]
	v_mul_f64 v[10:11], v[10:11], s[8:9]
	v_and_or_b32 v6, 0x1ff, v9, v8
	v_and_or_b32 v10, 0x1ff, v11, v10
	v_lshrrev_b32_e32 v8, 8, v9
	v_bfe_u32 v12, v9, 20, 11
	v_lshrrev_b32_e32 v13, 8, v11
	v_cmp_ne_u32_e32 vcc_lo, 0, v6
	v_bfe_u32 v14, v11, 20, 11
	v_lshrrev_b32_e32 v9, 16, v9
	v_sub_nc_u32_e32 v15, 0x3f1, v12
	v_add_nc_u32_e32 v12, 0xfffffc10, v12
	v_cndmask_b32_e64 v6, 0, 1, vcc_lo
	v_cmp_ne_u32_e32 vcc_lo, 0, v10
	v_lshrrev_b32_e32 v11, 16, v11
	v_and_or_b32 v6, 0xffe, v8, v6
	v_cndmask_b32_e64 v10, 0, 1, vcc_lo
	v_sub_nc_u32_e32 v8, 0x3f1, v14
	v_add_nc_u32_e32 v14, 0xfffffc10, v14
	v_and_or_b32 v10, 0xffe, v13, v10
	v_med3_i32 v13, v15, 0, 13
	v_or_b32_e32 v15, 0x1000, v6
	v_med3_i32 v8, v8, 0, 13
	v_or_b32_e32 v16, 0x1000, v10
	v_lshrrev_b32_e32 v17, v13, v15
	v_lshrrev_b32_e32 v18, v8, v16
	v_lshlrev_b32_e32 v13, v13, v17
	v_lshlrev_b32_e32 v8, v8, v18
	v_cmp_ne_u32_e32 vcc_lo, v13, v15
	v_lshl_or_b32 v15, v12, 12, v6
	v_cndmask_b32_e64 v13, 0, 1, vcc_lo
	v_cmp_ne_u32_e32 vcc_lo, v8, v16
	v_lshl_or_b32 v16, v14, 12, v10
	v_or_b32_e32 v13, v17, v13
	v_cndmask_b32_e64 v8, 0, 1, vcc_lo
	v_cmp_gt_i32_e32 vcc_lo, 1, v12
	v_or_b32_e32 v8, v18, v8
	v_cndmask_b32_e32 v13, v15, v13, vcc_lo
	v_cmp_gt_i32_e32 vcc_lo, 1, v14
	v_and_b32_e32 v15, 7, v13
	v_cndmask_b32_e32 v8, v16, v8, vcc_lo
	v_cmp_ne_u32_e32 vcc_lo, 0, v6
	v_lshrrev_b32_e32 v13, 2, v13
	v_cmp_eq_u32_e64 s0, 3, v15
	v_and_b32_e32 v16, 7, v8
	v_cndmask_b32_e64 v6, 0, 1, vcc_lo
	v_cmp_ne_u32_e32 vcc_lo, 0, v10
	v_lshrrev_b32_e32 v8, 2, v8
	v_cmp_lt_i32_e64 s1, 5, v16
	v_cmp_eq_u32_e64 s2, 3, v16
	v_cndmask_b32_e64 v10, 0, 1, vcc_lo
	v_cmp_lt_i32_e32 vcc_lo, 5, v15
	v_lshl_or_b32 v6, v6, 9, 0x7c00
	v_lshl_or_b32 v10, v10, 9, 0x7c00
	s_or_b32 vcc_lo, s0, vcc_lo
	v_add_co_ci_u32_e32 v13, vcc_lo, 0, v13, vcc_lo
	s_or_b32 vcc_lo, s2, s1
	v_add_co_ci_u32_e32 v8, vcc_lo, 0, v8, vcc_lo
	v_cmp_gt_i32_e32 vcc_lo, 31, v12
	v_cndmask_b32_e32 v13, 0x7c00, v13, vcc_lo
	v_cmp_gt_i32_e32 vcc_lo, 31, v14
	v_cndmask_b32_e32 v8, 0x7c00, v8, vcc_lo
	v_cmp_eq_u32_e32 vcc_lo, 0x40f, v12
	v_cndmask_b32_e32 v6, v13, v6, vcc_lo
	v_cmp_eq_u32_e32 vcc_lo, 0x40f, v14
	v_and_or_b32 v6, 0x8000, v9, v6
	v_cndmask_b32_e32 v8, v8, v10, vcc_lo
	v_add_co_u32 v4, vcc_lo, v4, s6
	v_add_co_ci_u32_e32 v5, vcc_lo, s3, v5, vcc_lo
	v_and_or_b32 v8, 0x8000, v11, v8
	v_and_b32_e32 v6, 0xffff, v6
	v_lshl_or_b32 v6, v8, 16, v6
	v_lshrrev_b32_e32 v8, 16, v7
	global_store_dword v[4:5], v6, off
	global_load_dword v6, v[2:3], off offset:576
	s_waitcnt vmcnt(0)
	v_mul_f16_sdwa v9, v8, v6 dst_sel:DWORD dst_unused:UNUSED_PAD src0_sel:DWORD src1_sel:WORD_1
	v_mul_f16_sdwa v10, v7, v6 dst_sel:DWORD dst_unused:UNUSED_PAD src0_sel:DWORD src1_sel:WORD_1
	v_fmac_f16_e32 v9, v7, v6
	v_fma_f16 v6, v6, v8, -v10
	v_cvt_f32_f16_e32 v7, v9
	v_cvt_f32_f16_e32 v8, v6
	v_cvt_f64_f32_e32 v[6:7], v7
	v_cvt_f64_f32_e32 v[8:9], v8
	v_mul_f64 v[6:7], v[6:7], s[8:9]
	v_mul_f64 v[8:9], v[8:9], s[8:9]
	v_and_or_b32 v6, 0x1ff, v7, v6
	v_and_or_b32 v8, 0x1ff, v9, v8
	v_lshrrev_b32_e32 v10, 8, v7
	v_bfe_u32 v11, v7, 20, 11
	v_lshrrev_b32_e32 v12, 8, v9
	v_cmp_ne_u32_e32 vcc_lo, 0, v6
	v_bfe_u32 v13, v9, 20, 11
	v_lshrrev_b32_e32 v7, 16, v7
	v_sub_nc_u32_e32 v14, 0x3f1, v11
	v_add_nc_u32_e32 v11, 0xfffffc10, v11
	v_cndmask_b32_e64 v6, 0, 1, vcc_lo
	v_cmp_ne_u32_e32 vcc_lo, 0, v8
	v_lshrrev_b32_e32 v9, 16, v9
	v_and_or_b32 v6, 0xffe, v10, v6
	v_cndmask_b32_e64 v8, 0, 1, vcc_lo
	v_sub_nc_u32_e32 v10, 0x3f1, v13
	v_add_nc_u32_e32 v13, 0xfffffc10, v13
	v_and_or_b32 v8, 0xffe, v12, v8
	v_med3_i32 v12, v14, 0, 13
	v_or_b32_e32 v14, 0x1000, v6
	v_med3_i32 v10, v10, 0, 13
	v_or_b32_e32 v15, 0x1000, v8
	v_lshrrev_b32_e32 v16, v12, v14
	v_lshrrev_b32_e32 v17, v10, v15
	v_lshlrev_b32_e32 v12, v12, v16
	v_lshlrev_b32_e32 v10, v10, v17
	v_cmp_ne_u32_e32 vcc_lo, v12, v14
	v_lshl_or_b32 v14, v11, 12, v6
	v_cndmask_b32_e64 v12, 0, 1, vcc_lo
	v_cmp_ne_u32_e32 vcc_lo, v10, v15
	v_lshl_or_b32 v15, v13, 12, v8
	v_or_b32_e32 v12, v16, v12
	v_cndmask_b32_e64 v10, 0, 1, vcc_lo
	v_cmp_gt_i32_e32 vcc_lo, 1, v11
	v_or_b32_e32 v10, v17, v10
	v_cndmask_b32_e32 v12, v14, v12, vcc_lo
	v_cmp_gt_i32_e32 vcc_lo, 1, v13
	v_and_b32_e32 v14, 7, v12
	v_cndmask_b32_e32 v10, v15, v10, vcc_lo
	v_cmp_ne_u32_e32 vcc_lo, 0, v6
	v_lshrrev_b32_e32 v12, 2, v12
	v_cmp_eq_u32_e64 s0, 3, v14
	v_and_b32_e32 v15, 7, v10
	v_cndmask_b32_e64 v6, 0, 1, vcc_lo
	v_cmp_ne_u32_e32 vcc_lo, 0, v8
	v_lshrrev_b32_e32 v10, 2, v10
	v_cmp_lt_i32_e64 s1, 5, v15
	v_cmp_eq_u32_e64 s2, 3, v15
	v_cndmask_b32_e64 v8, 0, 1, vcc_lo
	v_cmp_lt_i32_e32 vcc_lo, 5, v14
	v_lshl_or_b32 v6, v6, 9, 0x7c00
	v_lshl_or_b32 v8, v8, 9, 0x7c00
	s_or_b32 vcc_lo, s0, vcc_lo
	v_add_co_ci_u32_e32 v12, vcc_lo, 0, v12, vcc_lo
	s_or_b32 vcc_lo, s2, s1
	v_add_co_ci_u32_e32 v10, vcc_lo, 0, v10, vcc_lo
	v_cmp_gt_i32_e32 vcc_lo, 31, v11
	v_cndmask_b32_e32 v12, 0x7c00, v12, vcc_lo
	v_cmp_gt_i32_e32 vcc_lo, 31, v13
	v_cndmask_b32_e32 v10, 0x7c00, v10, vcc_lo
	v_cmp_eq_u32_e32 vcc_lo, 0x40f, v11
	v_cndmask_b32_e32 v6, v12, v6, vcc_lo
	v_cmp_eq_u32_e32 vcc_lo, 0x40f, v13
	v_and_or_b32 v6, 0x8000, v7, v6
	v_cndmask_b32_e32 v8, v10, v8, vcc_lo
	v_add_co_u32 v4, vcc_lo, v4, s6
	v_add_co_ci_u32_e32 v5, vcc_lo, s3, v5, vcc_lo
	v_and_or_b32 v7, 0x8000, v9, v8
	v_and_b32_e32 v6, 0xffff, v6
	v_lshl_or_b32 v6, v7, 16, v6
	global_store_dword v[4:5], v6, off
	global_load_dword v6, v[2:3], off offset:1056
	v_add_nc_u32_e32 v2, 0x1c00, v59
	ds_read2_b32 v[2:3], v2 offset0:8 offset1:128
	s_waitcnt lgkmcnt(0)
	v_lshrrev_b32_e32 v7, 16, v2
	s_waitcnt vmcnt(0)
	v_mul_f16_sdwa v8, v7, v6 dst_sel:DWORD dst_unused:UNUSED_PAD src0_sel:DWORD src1_sel:WORD_1
	v_mul_f16_sdwa v9, v2, v6 dst_sel:DWORD dst_unused:UNUSED_PAD src0_sel:DWORD src1_sel:WORD_1
	v_fmac_f16_e32 v8, v2, v6
	v_fma_f16 v2, v6, v7, -v9
	v_cvt_f32_f16_e32 v6, v8
	v_cvt_f32_f16_e32 v2, v2
	v_cvt_f64_f32_e32 v[6:7], v6
	v_cvt_f64_f32_e32 v[8:9], v2
	v_mul_f64 v[6:7], v[6:7], s[8:9]
	v_mul_f64 v[8:9], v[8:9], s[8:9]
	v_and_or_b32 v2, 0x1ff, v7, v6
	v_and_or_b32 v8, 0x1ff, v9, v8
	v_lshrrev_b32_e32 v6, 8, v7
	v_bfe_u32 v10, v7, 20, 11
	v_lshrrev_b32_e32 v11, 8, v9
	v_cmp_ne_u32_e32 vcc_lo, 0, v2
	v_bfe_u32 v12, v9, 20, 11
	v_lshrrev_b32_e32 v7, 16, v7
	v_sub_nc_u32_e32 v13, 0x3f1, v10
	v_add_nc_u32_e32 v10, 0xfffffc10, v10
	v_cndmask_b32_e64 v2, 0, 1, vcc_lo
	v_cmp_ne_u32_e32 vcc_lo, 0, v8
	v_lshrrev_b32_e32 v9, 16, v9
	v_and_or_b32 v2, 0xffe, v6, v2
	v_cndmask_b32_e64 v8, 0, 1, vcc_lo
	v_sub_nc_u32_e32 v6, 0x3f1, v12
	v_add_nc_u32_e32 v12, 0xfffffc10, v12
	v_and_or_b32 v8, 0xffe, v11, v8
	v_med3_i32 v11, v13, 0, 13
	v_or_b32_e32 v13, 0x1000, v2
	v_med3_i32 v6, v6, 0, 13
	v_or_b32_e32 v14, 0x1000, v8
	v_lshrrev_b32_e32 v15, v11, v13
	v_lshrrev_b32_e32 v16, v6, v14
	v_lshlrev_b32_e32 v11, v11, v15
	v_lshlrev_b32_e32 v6, v6, v16
	v_cmp_ne_u32_e32 vcc_lo, v11, v13
	v_lshl_or_b32 v13, v10, 12, v2
	v_cndmask_b32_e64 v11, 0, 1, vcc_lo
	v_cmp_ne_u32_e32 vcc_lo, v6, v14
	v_lshl_or_b32 v14, v12, 12, v8
	v_or_b32_e32 v11, v15, v11
	v_cndmask_b32_e64 v6, 0, 1, vcc_lo
	v_cmp_gt_i32_e32 vcc_lo, 1, v10
	v_or_b32_e32 v6, v16, v6
	v_cndmask_b32_e32 v11, v13, v11, vcc_lo
	v_cmp_gt_i32_e32 vcc_lo, 1, v12
	v_and_b32_e32 v13, 7, v11
	v_cndmask_b32_e32 v6, v14, v6, vcc_lo
	v_cmp_ne_u32_e32 vcc_lo, 0, v2
	v_lshrrev_b32_e32 v11, 2, v11
	v_cmp_eq_u32_e64 s0, 3, v13
	v_and_b32_e32 v14, 7, v6
	v_cndmask_b32_e64 v2, 0, 1, vcc_lo
	v_cmp_ne_u32_e32 vcc_lo, 0, v8
	v_lshrrev_b32_e32 v6, 2, v6
	v_cmp_lt_i32_e64 s1, 5, v14
	v_cmp_eq_u32_e64 s2, 3, v14
	v_cndmask_b32_e64 v8, 0, 1, vcc_lo
	v_cmp_lt_i32_e32 vcc_lo, 5, v13
	v_lshl_or_b32 v2, v2, 9, 0x7c00
	v_lshl_or_b32 v8, v8, 9, 0x7c00
	s_or_b32 vcc_lo, s0, vcc_lo
	v_add_co_ci_u32_e32 v11, vcc_lo, 0, v11, vcc_lo
	s_or_b32 vcc_lo, s2, s1
	v_add_co_ci_u32_e32 v6, vcc_lo, 0, v6, vcc_lo
	v_cmp_gt_i32_e32 vcc_lo, 31, v10
	v_cndmask_b32_e32 v11, 0x7c00, v11, vcc_lo
	v_cmp_gt_i32_e32 vcc_lo, 31, v12
	v_cndmask_b32_e32 v6, 0x7c00, v6, vcc_lo
	v_cmp_eq_u32_e32 vcc_lo, 0x40f, v10
	v_cndmask_b32_e32 v2, v11, v2, vcc_lo
	v_cmp_eq_u32_e32 vcc_lo, 0x40f, v12
	v_and_or_b32 v2, 0x8000, v7, v2
	v_cndmask_b32_e32 v6, v6, v8, vcc_lo
	v_add_co_u32 v4, vcc_lo, v4, s6
	v_add_co_ci_u32_e32 v5, vcc_lo, s3, v5, vcc_lo
	v_and_or_b32 v6, 0x8000, v9, v6
	v_and_b32_e32 v2, 0xffff, v2
	v_lshl_or_b32 v2, v6, 16, v2
	v_lshlrev_b32_e32 v6, 2, v58
	global_store_dword v[4:5], v2, off
	global_load_dword v2, v6, s[12:13]
	v_lshrrev_b32_e32 v4, 16, v3
	s_waitcnt vmcnt(0)
	v_mul_f16_sdwa v5, v4, v2 dst_sel:DWORD dst_unused:UNUSED_PAD src0_sel:DWORD src1_sel:WORD_1
	v_mul_f16_sdwa v6, v3, v2 dst_sel:DWORD dst_unused:UNUSED_PAD src0_sel:DWORD src1_sel:WORD_1
	v_fmac_f16_e32 v5, v3, v2
	v_fma_f16 v2, v2, v4, -v6
	v_cvt_f32_f16_e32 v3, v5
	v_cvt_f32_f16_e32 v4, v2
	v_cvt_f64_f32_e32 v[2:3], v3
	v_cvt_f64_f32_e32 v[4:5], v4
	v_mul_f64 v[2:3], v[2:3], s[8:9]
	v_mul_f64 v[4:5], v[4:5], s[8:9]
	v_and_or_b32 v2, 0x1ff, v3, v2
	v_and_or_b32 v4, 0x1ff, v5, v4
	v_lshrrev_b32_e32 v6, 8, v3
	v_bfe_u32 v8, v3, 20, 11
	v_bfe_u32 v9, v5, 20, 11
	v_cmp_ne_u32_e32 vcc_lo, 0, v2
	v_lshrrev_b32_e32 v7, 8, v5
	v_lshrrev_b32_e32 v5, 16, v5
	v_sub_nc_u32_e32 v10, 0x3f1, v8
	v_sub_nc_u32_e32 v11, 0x3f1, v9
	v_cndmask_b32_e64 v2, 0, 1, vcc_lo
	v_cmp_ne_u32_e32 vcc_lo, 0, v4
	v_add_nc_u32_e32 v9, 0xfffffc10, v9
	v_and_or_b32 v12, 0xffe, v6, v2
	v_cndmask_b32_e64 v4, 0, 1, vcc_lo
	v_med3_i32 v2, v10, 0, 13
	v_med3_i32 v10, v11, 0, 13
	v_or_b32_e32 v11, 0x1000, v12
	v_and_or_b32 v4, 0xffe, v7, v4
	v_mad_u64_u32 v[6:7], null, s4, v58, 0
	v_lshrrev_b32_e32 v14, v2, v11
	v_or_b32_e32 v13, 0x1000, v4
	v_lshlrev_b32_e32 v16, v2, v14
	v_lshrrev_b32_e32 v15, v10, v13
	v_mov_b32_e32 v2, v7
	v_cmp_ne_u32_e32 vcc_lo, v16, v11
	v_lshlrev_b32_e32 v7, v10, v15
	v_add_nc_u32_e32 v10, 0xfffffc10, v8
	v_cndmask_b32_e64 v11, 0, 1, vcc_lo
	v_cmp_ne_u32_e32 vcc_lo, v7, v13
	v_mad_u64_u32 v[7:8], null, s5, v58, v[2:3]
	v_lshl_or_b32 v2, v10, 12, v12
	v_or_b32_e32 v8, v14, v11
	v_cndmask_b32_e64 v13, 0, 1, vcc_lo
	v_cmp_gt_i32_e32 vcc_lo, 1, v10
	v_lshl_or_b32 v11, v9, 12, v4
	v_lshrrev_b32_e32 v3, 16, v3
	v_or_b32_e32 v13, v15, v13
	v_cndmask_b32_e32 v2, v2, v8, vcc_lo
	v_cmp_gt_i32_e32 vcc_lo, 1, v9
	v_cndmask_b32_e32 v8, v11, v13, vcc_lo
	v_cmp_ne_u32_e32 vcc_lo, 0, v12
	v_and_b32_e32 v12, 7, v2
	v_lshrrev_b32_e32 v2, 2, v2
	v_and_b32_e32 v13, 7, v8
	v_cndmask_b32_e64 v11, 0, 1, vcc_lo
	v_cmp_ne_u32_e32 vcc_lo, 0, v4
	v_cmp_eq_u32_e64 s0, 3, v12
	v_lshrrev_b32_e32 v8, 2, v8
	v_cmp_lt_i32_e64 s1, 5, v13
	v_cmp_eq_u32_e64 s2, 3, v13
	v_cndmask_b32_e64 v4, 0, 1, vcc_lo
	v_cmp_lt_i32_e32 vcc_lo, 5, v12
	v_lshl_or_b32 v11, v11, 9, 0x7c00
	v_lshl_or_b32 v4, v4, 9, 0x7c00
	s_or_b32 vcc_lo, s0, vcc_lo
	v_add_co_ci_u32_e32 v2, vcc_lo, 0, v2, vcc_lo
	s_or_b32 vcc_lo, s2, s1
	v_add_co_ci_u32_e32 v8, vcc_lo, 0, v8, vcc_lo
	v_cmp_gt_i32_e32 vcc_lo, 31, v10
	v_cndmask_b32_e32 v2, 0x7c00, v2, vcc_lo
	v_cmp_gt_i32_e32 vcc_lo, 31, v9
	v_cndmask_b32_e32 v8, 0x7c00, v8, vcc_lo
	v_cmp_eq_u32_e32 vcc_lo, 0x40f, v10
	v_cndmask_b32_e32 v2, v2, v11, vcc_lo
	v_cmp_eq_u32_e32 vcc_lo, 0x40f, v9
	v_and_or_b32 v2, 0x8000, v3, v2
	v_cndmask_b32_e32 v4, v8, v4, vcc_lo
	v_and_or_b32 v4, 0x8000, v5, v4
	v_and_b32_e32 v5, 0xffff, v2
	v_lshlrev_b64 v[2:3], 2, v[6:7]
	v_lshl_or_b32 v4, v4, 16, v5
	v_add_co_u32 v0, vcc_lo, v0, v2
	v_add_co_ci_u32_e32 v1, vcc_lo, v1, v3, vcc_lo
	global_store_dword v[0:1], v4, off
.LBB0_23:
	s_endpgm
	.section	.rodata,"a",@progbits
	.p2align	6, 0x0
	.amdhsa_kernel bluestein_single_back_len2040_dim1_half_op_CI_CI
		.amdhsa_group_segment_fixed_size 8160
		.amdhsa_private_segment_fixed_size 0
		.amdhsa_kernarg_size 104
		.amdhsa_user_sgpr_count 6
		.amdhsa_user_sgpr_private_segment_buffer 1
		.amdhsa_user_sgpr_dispatch_ptr 0
		.amdhsa_user_sgpr_queue_ptr 0
		.amdhsa_user_sgpr_kernarg_segment_ptr 1
		.amdhsa_user_sgpr_dispatch_id 0
		.amdhsa_user_sgpr_flat_scratch_init 0
		.amdhsa_user_sgpr_private_segment_size 0
		.amdhsa_wavefront_size32 1
		.amdhsa_uses_dynamic_stack 0
		.amdhsa_system_sgpr_private_segment_wavefront_offset 0
		.amdhsa_system_sgpr_workgroup_id_x 1
		.amdhsa_system_sgpr_workgroup_id_y 0
		.amdhsa_system_sgpr_workgroup_id_z 0
		.amdhsa_system_sgpr_workgroup_info 0
		.amdhsa_system_vgpr_workitem_id 0
		.amdhsa_next_free_vgpr 243
		.amdhsa_next_free_sgpr 16
		.amdhsa_reserve_vcc 1
		.amdhsa_reserve_flat_scratch 0
		.amdhsa_float_round_mode_32 0
		.amdhsa_float_round_mode_16_64 0
		.amdhsa_float_denorm_mode_32 3
		.amdhsa_float_denorm_mode_16_64 3
		.amdhsa_dx10_clamp 1
		.amdhsa_ieee_mode 1
		.amdhsa_fp16_overflow 0
		.amdhsa_workgroup_processor_mode 1
		.amdhsa_memory_ordered 1
		.amdhsa_forward_progress 0
		.amdhsa_shared_vgpr_count 0
		.amdhsa_exception_fp_ieee_invalid_op 0
		.amdhsa_exception_fp_denorm_src 0
		.amdhsa_exception_fp_ieee_div_zero 0
		.amdhsa_exception_fp_ieee_overflow 0
		.amdhsa_exception_fp_ieee_underflow 0
		.amdhsa_exception_fp_ieee_inexact 0
		.amdhsa_exception_int_div_zero 0
	.end_amdhsa_kernel
	.text
.Lfunc_end0:
	.size	bluestein_single_back_len2040_dim1_half_op_CI_CI, .Lfunc_end0-bluestein_single_back_len2040_dim1_half_op_CI_CI
                                        ; -- End function
	.section	.AMDGPU.csdata,"",@progbits
; Kernel info:
; codeLenInByte = 33492
; NumSgprs: 18
; NumVgprs: 243
; ScratchSize: 0
; MemoryBound: 0
; FloatMode: 240
; IeeeMode: 1
; LDSByteSize: 8160 bytes/workgroup (compile time only)
; SGPRBlocks: 2
; VGPRBlocks: 30
; NumSGPRsForWavesPerEU: 18
; NumVGPRsForWavesPerEU: 243
; Occupancy: 4
; WaveLimiterHint : 1
; COMPUTE_PGM_RSRC2:SCRATCH_EN: 0
; COMPUTE_PGM_RSRC2:USER_SGPR: 6
; COMPUTE_PGM_RSRC2:TRAP_HANDLER: 0
; COMPUTE_PGM_RSRC2:TGID_X_EN: 1
; COMPUTE_PGM_RSRC2:TGID_Y_EN: 0
; COMPUTE_PGM_RSRC2:TGID_Z_EN: 0
; COMPUTE_PGM_RSRC2:TIDIG_COMP_CNT: 0
	.text
	.p2alignl 6, 3214868480
	.fill 48, 4, 3214868480
	.type	__hip_cuid_61e49f8fa905d74,@object ; @__hip_cuid_61e49f8fa905d74
	.section	.bss,"aw",@nobits
	.globl	__hip_cuid_61e49f8fa905d74
__hip_cuid_61e49f8fa905d74:
	.byte	0                               ; 0x0
	.size	__hip_cuid_61e49f8fa905d74, 1

	.ident	"AMD clang version 19.0.0git (https://github.com/RadeonOpenCompute/llvm-project roc-6.4.0 25133 c7fe45cf4b819c5991fe208aaa96edf142730f1d)"
	.section	".note.GNU-stack","",@progbits
	.addrsig
	.addrsig_sym __hip_cuid_61e49f8fa905d74
	.amdgpu_metadata
---
amdhsa.kernels:
  - .args:
      - .actual_access:  read_only
        .address_space:  global
        .offset:         0
        .size:           8
        .value_kind:     global_buffer
      - .actual_access:  read_only
        .address_space:  global
        .offset:         8
        .size:           8
        .value_kind:     global_buffer
      - .actual_access:  read_only
        .address_space:  global
        .offset:         16
        .size:           8
        .value_kind:     global_buffer
      - .actual_access:  read_only
        .address_space:  global
        .offset:         24
        .size:           8
        .value_kind:     global_buffer
      - .actual_access:  read_only
        .address_space:  global
        .offset:         32
        .size:           8
        .value_kind:     global_buffer
      - .offset:         40
        .size:           8
        .value_kind:     by_value
      - .address_space:  global
        .offset:         48
        .size:           8
        .value_kind:     global_buffer
      - .address_space:  global
        .offset:         56
        .size:           8
        .value_kind:     global_buffer
      - .address_space:  global
        .offset:         64
        .size:           8
        .value_kind:     global_buffer
      - .address_space:  global
        .offset:         72
        .size:           8
        .value_kind:     global_buffer
      - .offset:         80
        .size:           4
        .value_kind:     by_value
      - .address_space:  global
        .offset:         88
        .size:           8
        .value_kind:     global_buffer
      - .address_space:  global
        .offset:         96
        .size:           8
        .value_kind:     global_buffer
    .group_segment_fixed_size: 8160
    .kernarg_segment_align: 8
    .kernarg_segment_size: 104
    .language:       OpenCL C
    .language_version:
      - 2
      - 0
    .max_flat_workgroup_size: 170
    .name:           bluestein_single_back_len2040_dim1_half_op_CI_CI
    .private_segment_fixed_size: 0
    .sgpr_count:     18
    .sgpr_spill_count: 0
    .symbol:         bluestein_single_back_len2040_dim1_half_op_CI_CI.kd
    .uniform_work_group_size: 1
    .uses_dynamic_stack: false
    .vgpr_count:     243
    .vgpr_spill_count: 0
    .wavefront_size: 32
    .workgroup_processor_mode: 1
amdhsa.target:   amdgcn-amd-amdhsa--gfx1030
amdhsa.version:
  - 1
  - 2
...

	.end_amdgpu_metadata
